;; amdgpu-corpus repo=ROCm/rocFFT kind=compiled arch=gfx906 opt=O3
	.text
	.amdgcn_target "amdgcn-amd-amdhsa--gfx906"
	.amdhsa_code_object_version 6
	.protected	bluestein_single_fwd_len196_dim1_half_op_CI_CI ; -- Begin function bluestein_single_fwd_len196_dim1_half_op_CI_CI
	.globl	bluestein_single_fwd_len196_dim1_half_op_CI_CI
	.p2align	8
	.type	bluestein_single_fwd_len196_dim1_half_op_CI_CI,@function
bluestein_single_fwd_len196_dim1_half_op_CI_CI: ; @bluestein_single_fwd_len196_dim1_half_op_CI_CI
; %bb.0:
	s_load_dwordx4 s[12:15], s[4:5], 0x28
	v_mul_u32_u24_e32 v1, 0x925, v0
	v_lshrrev_b32_e32 v2, 16, v1
	v_lshl_add_u32 v10, s6, 1, v2
	v_mov_b32_e32 v11, 0
	s_waitcnt lgkmcnt(0)
	v_cmp_gt_u64_e32 vcc, s[12:13], v[10:11]
	s_and_saveexec_b64 s[0:1], vcc
	s_cbranch_execz .LBB0_15
; %bb.1:
	s_load_dwordx4 s[8:11], s[4:5], 0x18
	s_load_dwordx2 s[12:13], s[4:5], 0x0
	v_mul_lo_u16_e32 v1, 28, v2
	v_sub_u16_e32 v27, v0, v1
	v_lshlrev_b32_e32 v19, 2, v27
	s_waitcnt lgkmcnt(0)
	s_load_dwordx4 s[0:3], s[8:9], 0x0
	global_load_dword v28, v19, s[12:13]
	s_waitcnt lgkmcnt(0)
	v_mad_u64_u32 v[0:1], s[6:7], s2, v10, 0
	v_mad_u64_u32 v[3:4], s[6:7], s0, v27, 0
	;; [unrolled: 1-line block ×3, first 2 shown]
	v_and_b32_e32 v2, 1, v2
	s_load_dwordx2 s[6:7], s[4:5], 0x38
	v_mad_u64_u32 v[6:7], s[2:3], s1, v27, v[4:5]
	v_mov_b32_e32 v1, v5
	v_lshlrev_b64 v[0:1], 2, v[0:1]
	v_mov_b32_e32 v7, s15
	v_mov_b32_e32 v4, v6
	v_add_co_u32_e32 v5, vcc, s14, v0
	v_addc_co_u32_e32 v6, vcc, v7, v1, vcc
	v_lshlrev_b64 v[0:1], 2, v[3:4]
	s_mul_i32 s2, s1, 49
	s_mul_hi_u32 s3, s0, 49
	v_add_co_u32_e32 v0, vcc, v5, v0
	s_add_i32 s3, s3, s2
	s_mul_i32 s2, s0, 49
	v_addc_co_u32_e32 v1, vcc, v6, v1, vcc
	s_lshl_b64 s[2:3], s[2:3], 2
	global_load_dword v3, v[0:1], off
	v_mov_b32_e32 v4, s3
	v_add_co_u32_e32 v0, vcc, s2, v0
	v_addc_co_u32_e32 v1, vcc, v1, v4, vcc
	global_load_dword v5, v[0:1], off
	global_load_dword v26, v19, s[12:13] offset:196
	v_add_co_u32_e32 v0, vcc, s2, v0
	v_addc_co_u32_e32 v1, vcc, v1, v4, vcc
	global_load_dword v6, v[0:1], off
	global_load_dword v25, v19, s[12:13] offset:392
	;; [unrolled: 4-line block ×3, first 2 shown]
	v_mov_b32_e32 v7, 0x310
	v_cmp_eq_u32_e32 vcc, 1, v2
	v_cndmask_b32_e32 v13, 0, v7, vcc
	v_mov_b32_e32 v2, s13
	v_add_co_u32_e32 v8, vcc, s12, v19
	v_addc_co_u32_e32 v9, vcc, 0, v2, vcc
	s_load_dwordx4 s[8:11], s[10:11], 0x0
	v_add_u32_e32 v23, v13, v19
	v_cmp_gt_u16_e32 vcc, 21, v27
	s_waitcnt vmcnt(6)
	v_lshrrev_b32_e32 v2, 16, v3
	v_mul_f16_sdwa v7, v28, v3 dst_sel:DWORD dst_unused:UNUSED_PAD src0_sel:WORD_1 src1_sel:DWORD
	v_fma_f16 v7, v28, v2, -v7
	v_mul_f16_sdwa v2, v28, v2 dst_sel:DWORD dst_unused:UNUSED_PAD src0_sel:WORD_1 src1_sel:DWORD
	v_fma_f16 v2, v28, v3, v2
	s_waitcnt vmcnt(5)
	v_lshrrev_b32_e32 v11, 16, v5
	s_waitcnt vmcnt(4)
	v_mul_f16_sdwa v12, v26, v5 dst_sel:DWORD dst_unused:UNUSED_PAD src0_sel:WORD_1 src1_sel:DWORD
	v_fma_f16 v3, v26, v11, -v12
	v_mul_f16_sdwa v11, v26, v11 dst_sel:DWORD dst_unused:UNUSED_PAD src0_sel:WORD_1 src1_sel:DWORD
	v_pack_b32_f16 v2, v2, v7
	s_waitcnt vmcnt(3)
	v_lshrrev_b32_e32 v12, 16, v6
	s_waitcnt vmcnt(2)
	v_mul_f16_sdwa v14, v25, v6 dst_sel:DWORD dst_unused:UNUSED_PAD src0_sel:WORD_1 src1_sel:DWORD
	v_fma_f16 v5, v26, v5, v11
	v_fma_f16 v7, v25, v12, -v14
	v_mul_f16_sdwa v11, v25, v12 dst_sel:DWORD dst_unused:UNUSED_PAD src0_sel:WORD_1 src1_sel:DWORD
	s_waitcnt vmcnt(1)
	v_lshrrev_b32_e32 v12, 16, v4
	s_waitcnt vmcnt(0)
	v_mul_f16_sdwa v14, v24, v4 dst_sel:DWORD dst_unused:UNUSED_PAD src0_sel:WORD_1 src1_sel:DWORD
	v_pack_b32_f16 v3, v5, v3
	v_fma_f16 v5, v25, v6, v11
	v_mul_f16_sdwa v6, v24, v12 dst_sel:DWORD dst_unused:UNUSED_PAD src0_sel:WORD_1 src1_sel:DWORD
	v_fma_f16 v11, v24, v12, -v14
	ds_write2_b32 v23, v2, v3 offset1:49
	v_fma_f16 v3, v24, v4, v6
	v_pack_b32_f16 v2, v5, v7
	v_pack_b32_f16 v3, v3, v11
	ds_write2_b32 v23, v2, v3 offset0:98 offset1:147
	s_and_saveexec_b64 s[14:15], vcc
	s_cbranch_execz .LBB0_3
; %bb.2:
	v_mov_b32_e32 v2, 0xfffffe24
	v_mad_u64_u32 v[0:1], s[16:17], s0, v2, v[0:1]
	s_mulk_i32 s1, 0xfe24
	s_sub_i32 s0, s1, s0
	v_add_u32_e32 v1, s0, v1
	global_load_dword v2, v[0:1], off
	global_load_dword v3, v[8:9], off offset:112
	v_mov_b32_e32 v4, s3
	v_add_co_u32_e64 v0, s[0:1], s2, v0
	v_addc_co_u32_e64 v1, s[0:1], v1, v4, s[0:1]
	global_load_dword v5, v[0:1], off
	global_load_dword v6, v[8:9], off offset:308
	v_add_co_u32_e64 v0, s[0:1], s2, v0
	v_addc_co_u32_e64 v1, s[0:1], v1, v4, s[0:1]
	global_load_dword v7, v[0:1], off
	global_load_dword v11, v[8:9], off offset:504
	;; [unrolled: 4-line block ×3, first 2 shown]
	s_waitcnt vmcnt(7)
	v_lshrrev_b32_e32 v0, 16, v2
	s_waitcnt vmcnt(6)
	v_mul_f16_sdwa v1, v3, v2 dst_sel:DWORD dst_unused:UNUSED_PAD src0_sel:WORD_1 src1_sel:DWORD
	v_mul_f16_sdwa v14, v3, v0 dst_sel:DWORD dst_unused:UNUSED_PAD src0_sel:WORD_1 src1_sel:DWORD
	v_fma_f16 v0, v3, v0, -v1
	v_fma_f16 v2, v3, v2, v14
	v_pack_b32_f16 v0, v2, v0
	s_waitcnt vmcnt(5)
	v_lshrrev_b32_e32 v1, 16, v5
	s_waitcnt vmcnt(4)
	v_mul_f16_sdwa v15, v6, v5 dst_sel:DWORD dst_unused:UNUSED_PAD src0_sel:WORD_1 src1_sel:DWORD
	v_mul_f16_sdwa v3, v6, v1 dst_sel:DWORD dst_unused:UNUSED_PAD src0_sel:WORD_1 src1_sel:DWORD
	v_fma_f16 v1, v6, v1, -v15
	v_fma_f16 v2, v6, v5, v3
	s_waitcnt vmcnt(3)
	v_lshrrev_b32_e32 v14, 16, v7
	s_waitcnt vmcnt(2)
	v_mul_f16_sdwa v15, v11, v7 dst_sel:DWORD dst_unused:UNUSED_PAD src0_sel:WORD_1 src1_sel:DWORD
	v_mul_f16_sdwa v3, v11, v14 dst_sel:DWORD dst_unused:UNUSED_PAD src0_sel:WORD_1 src1_sel:DWORD
	v_fma_f16 v5, v11, v14, -v15
	v_pack_b32_f16 v1, v2, v1
	s_waitcnt vmcnt(1)
	v_lshrrev_b32_e32 v6, 16, v4
	s_waitcnt vmcnt(0)
	v_mul_f16_sdwa v14, v12, v4 dst_sel:DWORD dst_unused:UNUSED_PAD src0_sel:WORD_1 src1_sel:DWORD
	v_fma_f16 v2, v11, v7, v3
	v_mul_f16_sdwa v3, v12, v6 dst_sel:DWORD dst_unused:UNUSED_PAD src0_sel:WORD_1 src1_sel:DWORD
	ds_write2_b32 v23, v0, v1 offset0:28 offset1:77
	v_pack_b32_f16 v0, v2, v5
	v_fma_f16 v1, v12, v4, v3
	v_fma_f16 v2, v12, v6, -v14
	v_pack_b32_f16 v1, v1, v2
	ds_write2_b32 v23, v0, v1 offset0:126 offset1:175
.LBB0_3:
	s_or_b64 exec, exec, s[14:15]
	s_load_dwordx2 s[2:3], s[4:5], 0x8
	s_waitcnt lgkmcnt(0)
	; wave barrier
	s_waitcnt lgkmcnt(0)
	ds_read2_b32 v[2:3], v23 offset1:49
	ds_read2_b32 v[6:7], v23 offset0:98 offset1:147
                                        ; implicit-def: $vgpr0
                                        ; implicit-def: $vgpr4
	s_and_saveexec_b64 s[0:1], vcc
	s_cbranch_execz .LBB0_5
; %bb.4:
	ds_read2_b32 v[0:1], v23 offset0:28 offset1:77
	ds_read2_b32 v[4:5], v23 offset0:126 offset1:175
.LBB0_5:
	s_or_b64 exec, exec, s[0:1]
	s_waitcnt lgkmcnt(0)
	v_pk_add_f16 v6, v2, v6 neg_lo:[0,1] neg_hi:[0,1]
	v_pk_add_f16 v7, v3, v7 neg_lo:[0,1] neg_hi:[0,1]
	v_lshrrev_b32_e32 v14, 16, v6
	v_sub_f16_sdwa v12, v6, v7 dst_sel:DWORD dst_unused:UNUSED_PAD src0_sel:DWORD src1_sel:WORD_1
	v_add_f16_e32 v16, v14, v7
	v_pk_fma_f16 v2, v2, 2.0, v6 op_sel_hi:[1,0,1] neg_lo:[0,0,1] neg_hi:[0,0,1]
	v_pk_fma_f16 v3, v3, 2.0, v7 op_sel_hi:[1,0,1] neg_lo:[0,0,1] neg_hi:[0,0,1]
	v_add_co_u32_e64 v11, s[0:1], 28, v27
	v_fma_f16 v20, v6, 2.0, -v12
	v_fma_f16 v21, v14, 2.0, -v16
	v_pk_add_f16 v4, v0, v4 neg_lo:[0,1] neg_hi:[0,1]
	v_pk_add_f16 v5, v1, v5 neg_lo:[0,1] neg_hi:[0,1]
	v_lshlrev_b16_e32 v15, 2, v27
	v_pk_add_f16 v17, v2, v3 neg_lo:[0,1] neg_hi:[0,1]
	v_pk_add_f16 v14, v4, v5 op_sel:[0,1] op_sel_hi:[1,0] neg_lo:[0,1] neg_hi:[0,1]
	v_pk_add_f16 v32, v4, v5 op_sel:[0,1] op_sel_hi:[1,0]
	v_lshl_add_u32 v30, v15, 2, v13
	v_pk_fma_f16 v15, v2, 2.0, v17 op_sel_hi:[1,0,1] neg_lo:[0,0,1] neg_hi:[0,0,1]
	v_pack_b32_f16 v18, v12, v16
	v_pack_b32_f16 v16, v20, v21
	v_lshl_add_u32 v29, v11, 4, v13
	s_waitcnt lgkmcnt(0)
	; wave barrier
	ds_write_b128 v30, v[15:18]
	s_and_saveexec_b64 s[0:1], vcc
	s_cbranch_execz .LBB0_7
; %bb.6:
	v_pk_fma_f16 v0, v0, 2.0, v4 op_sel_hi:[1,0,1] neg_lo:[0,0,1] neg_hi:[0,0,1]
	v_pk_fma_f16 v1, v1, 2.0, v5 op_sel_hi:[1,0,1] neg_lo:[0,0,1] neg_hi:[0,0,1]
	s_mov_b32 s4, 0xffff
	v_pk_add_f16 v2, v0, v1 neg_lo:[0,1] neg_hi:[0,1]
	v_bfi_b32 v3, s4, v14, v32
	v_pk_fma_f16 v0, v0, 2.0, v2 op_sel_hi:[1,0,1] neg_lo:[0,0,1] neg_hi:[0,0,1]
	v_pk_fma_f16 v1, v4, 2.0, v3 op_sel_hi:[1,0,1] neg_lo:[0,0,1] neg_hi:[0,0,1]
	ds_write_b128 v29, v[0:3]
.LBB0_7:
	s_or_b64 exec, exec, s[0:1]
	v_and_b32_e32 v17, 3, v27
	v_mul_u32_u24_e32 v0, 6, v17
	v_lshlrev_b32_e32 v4, 2, v0
	s_waitcnt lgkmcnt(0)
	; wave barrier
	s_waitcnt lgkmcnt(0)
	global_load_dwordx4 v[0:3], v4, s[2:3]
	global_load_dwordx2 v[11:12], v4, s[2:3] offset:16
	ds_read2_b32 v[4:5], v23 offset0:56 offset1:84
	ds_read2_b32 v[6:7], v23 offset0:112 offset1:140
	ds_read_b32 v20, v23 offset:672
	ds_read2_b32 v[15:16], v23 offset1:28
	v_lshrrev_b32_e32 v18, 2, v27
	v_mul_u32_u24_e32 v18, 28, v18
	v_or_b32_e32 v17, v18, v17
	v_lshl_add_u32 v31, v17, 2, v13
	s_waitcnt lgkmcnt(3)
	v_lshrrev_b32_e32 v13, 16, v4
	s_waitcnt lgkmcnt(2)
	v_lshrrev_b32_e32 v21, 16, v7
	;; [unrolled: 2-line block ×4, first 2 shown]
	v_lshrrev_b32_e32 v17, 16, v5
	v_lshrrev_b32_e32 v18, 16, v6
	s_mov_b32 s5, 0xbcab
	s_movk_i32 s4, 0x2b26
	s_movk_i32 s1, 0x3574
	;; [unrolled: 1-line block ×4, first 2 shown]
	s_mov_b32 s17, 0xb574
	s_waitcnt lgkmcnt(0)
	; wave barrier
	s_movk_i32 s14, 0x39e0
	s_mov_b32 s15, 0xb9e0
	s_waitcnt vmcnt(1)
	v_mul_f16_sdwa v34, v13, v1 dst_sel:DWORD dst_unused:UNUSED_PAD src0_sel:DWORD src1_sel:WORD_1
	v_mul_f16_sdwa v35, v4, v1 dst_sel:DWORD dst_unused:UNUSED_PAD src0_sel:DWORD src1_sel:WORD_1
	s_waitcnt vmcnt(0)
	v_mul_f16_sdwa v39, v21, v11 dst_sel:DWORD dst_unused:UNUSED_PAD src0_sel:DWORD src1_sel:WORD_1
	v_mul_f16_sdwa v41, v7, v11 dst_sel:DWORD dst_unused:UNUSED_PAD src0_sel:DWORD src1_sel:WORD_1
	;; [unrolled: 1-line block ×10, first 2 shown]
	v_fma_f16 v4, v4, v1, -v34
	v_fma_f16 v7, v7, v11, -v39
	v_fma_f16 v13, v13, v1, v35
	v_fma_f16 v21, v21, v11, v41
	v_fma_f16 v20, v20, v12, -v42
	v_fma_f16 v22, v22, v12, v43
	v_fma_f16 v33, v33, v0, v44
	v_fma_f16 v16, v16, v0, -v45
	v_fma_f16 v5, v5, v2, -v36
	;; [unrolled: 1-line block ×3, first 2 shown]
	v_fma_f16 v17, v17, v2, v37
	v_fma_f16 v18, v18, v3, v40
	v_add_f16_e32 v34, v16, v20
	v_sub_f16_e32 v16, v16, v20
	v_add_f16_e32 v20, v33, v22
	v_sub_f16_e32 v22, v33, v22
	;; [unrolled: 2-line block ×6, first 2 shown]
	v_add_f16_e32 v18, v33, v34
	v_add_f16_e32 v35, v7, v20
	v_sub_f16_e32 v36, v34, v21
	v_sub_f16_e32 v38, v20, v6
	;; [unrolled: 1-line block ×3, first 2 shown]
	v_add_f16_e32 v40, v5, v4
	v_sub_f16_e32 v41, v5, v4
	v_add_f16_e32 v42, v17, v13
	v_add_f16_e32 v18, v21, v18
	;; [unrolled: 1-line block ×3, first 2 shown]
	v_sub_f16_e32 v37, v21, v33
	v_sub_f16_e32 v5, v16, v5
	;; [unrolled: 1-line block ×3, first 2 shown]
	v_add_f16_e32 v21, v40, v16
	v_add_f16_e32 v35, v42, v22
	v_mul_f16_e32 v36, 0x3a52, v36
	v_mul_f16_e32 v38, 0x3a52, v38
	;; [unrolled: 1-line block ×3, first 2 shown]
	v_add_f16_e32 v42, v15, v18
	v_add_f16_sdwa v15, v15, v6 dst_sel:DWORD dst_unused:UNUSED_PAD src0_sel:WORD_1 src1_sel:DWORD
	v_sub_f16_e32 v17, v22, v17
	v_mul_f16_e32 v41, 0xb846, v43
	v_fma_f16 v43, v37, s4, v36
	v_fma_f16 v44, v39, s4, v38
	;; [unrolled: 1-line block ×5, first 2 shown]
	v_pack_b32_f16 v15, v42, v15
	v_add_f16_e32 v42, v43, v18
	v_add_f16_e32 v43, v44, v6
	v_fma_f16 v44, v21, s0, v45
	v_fma_f16 v45, v17, s1, v41
	;; [unrolled: 1-line block ×3, first 2 shown]
	v_add_f16_e32 v46, v45, v42
	v_sub_f16_e32 v47, v43, v44
	v_sub_f16_e32 v4, v4, v16
	v_pack_b32_f16 v46, v46, v47
	v_sub_f16_e32 v13, v13, v22
	v_fma_f16 v22, v4, s16, -v40
	v_mul_f16_e32 v4, 0x3b00, v4
	ds_write2_b32 v31, v15, v46 offset1:4
	v_sub_f16_e32 v15, v33, v34
	v_sub_f16_e32 v7, v7, v20
	v_mul_f16_e32 v16, 0x2b26, v37
	v_mul_f16_e32 v20, 0x2b26, v39
	v_fma_f16 v4, v5, s17, -v4
	v_fma_f16 v5, v13, s16, -v41
	v_mul_f16_e32 v13, 0x3b00, v13
	v_fma_f16 v16, v15, s14, -v16
	v_fma_f16 v15, v15, s15, -v36
	;; [unrolled: 1-line block ×5, first 2 shown]
	v_add_f16_e32 v16, v16, v18
	v_add_f16_e32 v15, v15, v18
	;; [unrolled: 1-line block ×4, first 2 shown]
	v_fma_f16 v7, v21, s0, v22
	v_fma_f16 v4, v21, s0, v4
	;; [unrolled: 1-line block ×4, first 2 shown]
	v_sub_f16_e32 v18, v16, v5
	v_add_f16_e32 v5, v5, v16
	v_add_f16_e32 v16, v7, v17
	v_sub_f16_e32 v7, v17, v7
	v_add_f16_e32 v17, v13, v15
	v_sub_f16_e32 v13, v15, v13
	v_sub_f16_e32 v15, v6, v4
	v_pack_b32_f16 v15, v17, v15
	v_pack_b32_f16 v16, v18, v16
	v_mad_u64_u32 v[17:18], s[2:3], v27, 24, s[2:3]
	v_add_f16_e32 v4, v4, v6
	v_sub_f16_e32 v6, v42, v45
	v_add_f16_e32 v20, v44, v43
	v_pack_b32_f16 v5, v5, v7
	v_pack_b32_f16 v4, v13, v4
	ds_write2_b32 v31, v5, v4 offset0:16 offset1:20
	v_pack_b32_f16 v4, v6, v20
	ds_write2_b32 v31, v15, v16 offset0:8 offset1:12
	ds_write_b32 v31, v4 offset:96
	s_waitcnt lgkmcnt(0)
	; wave barrier
	s_waitcnt lgkmcnt(0)
	global_load_dwordx4 v[4:7], v[17:18], off offset:96
	global_load_dwordx2 v[15:16], v[17:18], off offset:112
	ds_read2_b32 v[17:18], v23 offset0:56 offset1:84
	ds_read2_b32 v[20:21], v23 offset0:112 offset1:140
	ds_read_b32 v13, v23 offset:672
	s_waitcnt lgkmcnt(2)
	v_lshrrev_b32_e32 v22, 16, v17
	v_lshrrev_b32_e32 v33, 16, v18
	s_waitcnt lgkmcnt(1)
	v_lshrrev_b32_e32 v34, 16, v20
	v_lshrrev_b32_e32 v35, 16, v21
	s_waitcnt vmcnt(1)
	v_mul_f16_sdwa v36, v22, v5 dst_sel:DWORD dst_unused:UNUSED_PAD src0_sel:DWORD src1_sel:WORD_1
	v_mul_f16_sdwa v37, v33, v6 dst_sel:DWORD dst_unused:UNUSED_PAD src0_sel:DWORD src1_sel:WORD_1
	;; [unrolled: 1-line block ×4, first 2 shown]
	v_fma_f16 v36, v17, v5, -v36
	v_fma_f16 v37, v18, v6, -v37
	ds_read2_b32 v[17:18], v23 offset1:28
	v_fma_f16 v22, v22, v5, v38
	s_waitcnt lgkmcnt(1)
	v_lshrrev_b32_e32 v38, 16, v13
	v_fma_f16 v33, v33, v6, v39
	s_waitcnt vmcnt(0)
	v_mul_f16_sdwa v39, v38, v16 dst_sel:DWORD dst_unused:UNUSED_PAD src0_sel:DWORD src1_sel:WORD_1
	v_mul_f16_sdwa v40, v34, v7 dst_sel:DWORD dst_unused:UNUSED_PAD src0_sel:DWORD src1_sel:WORD_1
	v_fma_f16 v39, v13, v16, -v39
	v_mul_f16_sdwa v13, v13, v16 dst_sel:DWORD dst_unused:UNUSED_PAD src0_sel:DWORD src1_sel:WORD_1
	v_mul_f16_sdwa v42, v20, v7 dst_sel:DWORD dst_unused:UNUSED_PAD src0_sel:DWORD src1_sel:WORD_1
	v_fma_f16 v20, v20, v7, -v40
	v_fma_f16 v13, v38, v16, v13
	s_waitcnt lgkmcnt(0)
	v_lshrrev_b32_e32 v38, 16, v18
	v_mul_f16_sdwa v40, v18, v4 dst_sel:DWORD dst_unused:UNUSED_PAD src0_sel:DWORD src1_sel:WORD_1
	v_mul_f16_sdwa v41, v35, v15 dst_sel:DWORD dst_unused:UNUSED_PAD src0_sel:DWORD src1_sel:WORD_1
	v_fma_f16 v40, v38, v4, v40
	v_mul_f16_sdwa v38, v38, v4 dst_sel:DWORD dst_unused:UNUSED_PAD src0_sel:DWORD src1_sel:WORD_1
	v_mul_f16_sdwa v43, v21, v15 dst_sel:DWORD dst_unused:UNUSED_PAD src0_sel:DWORD src1_sel:WORD_1
	v_fma_f16 v21, v21, v15, -v41
	v_fma_f16 v18, v18, v4, -v38
	v_fma_f16 v34, v34, v7, v42
	v_fma_f16 v35, v35, v15, v43
	v_add_f16_e32 v38, v18, v39
	v_add_f16_e32 v41, v36, v21
	v_sub_f16_e32 v18, v18, v39
	v_add_f16_e32 v39, v40, v13
	v_sub_f16_e32 v40, v40, v13
	v_sub_f16_e32 v21, v36, v21
	v_add_f16_e32 v36, v22, v35
	v_sub_f16_e32 v22, v22, v35
	v_add_f16_e32 v13, v37, v20
	v_add_f16_e32 v35, v33, v34
	v_sub_f16_e32 v33, v34, v33
	v_add_f16_e32 v34, v41, v38
	v_add_f16_e32 v34, v13, v34
	v_sub_f16_e32 v43, v38, v13
	v_sub_f16_e32 v20, v20, v37
	v_add_f16_e32 v37, v36, v39
	v_add_f16_e32 v42, v17, v34
	v_sub_f16_e32 v44, v13, v41
	v_add_f16_e32 v13, v33, v22
	v_sub_f16_e32 v45, v33, v22
	v_mul_f16_e32 v43, 0x3a52, v43
	v_add_f16_e32 v37, v35, v37
	v_sub_f16_e32 v33, v40, v33
	v_add_f16_e32 v46, v13, v40
	v_mul_f16_e32 v45, 0xb846, v45
	v_fma_f16 v34, v34, s5, v42
	v_fma_f16 v13, v44, s4, v43
	v_add_f16_sdwa v17, v17, v37 dst_sel:DWORD dst_unused:UNUSED_PAD src0_sel:WORD_1 src1_sel:DWORD
	v_add_f16_e32 v47, v13, v34
	v_fma_f16 v13, v33, s1, v45
	v_fma_f16 v48, v46, s0, v13
	;; [unrolled: 1-line block ×3, first 2 shown]
	v_pack_b32_f16 v17, v42, v17
	v_sub_f16_e32 v42, v39, v35
	v_sub_f16_e32 v49, v20, v21
	;; [unrolled: 1-line block ×3, first 2 shown]
	v_add_f16_e32 v47, v48, v47
	v_sub_f16_e32 v35, v35, v36
	v_add_f16_e32 v48, v20, v21
	v_sub_f16_e32 v20, v18, v20
	v_mul_f16_e32 v42, 0x3a52, v42
	v_mul_f16_e32 v49, 0xb846, v49
	v_add_f16_e32 v48, v48, v18
	v_fma_f16 v50, v35, s4, v42
	v_fma_f16 v51, v20, s1, v49
	v_add_f16_e32 v50, v50, v37
	v_fma_f16 v51, v48, s0, v51
	v_sub_f16_e32 v52, v50, v51
	v_pack_b32_f16 v47, v47, v52
	v_sub_f16_e32 v18, v21, v18
	ds_write2_b32 v23, v17, v47 offset1:28
	v_sub_f16_e32 v17, v41, v38
	v_sub_f16_e32 v21, v22, v40
	v_fma_f16 v38, v18, s16, -v49
	v_mul_f16_e32 v18, 0x3b00, v18
	v_sub_f16_e32 v36, v36, v39
	v_mul_f16_e32 v22, 0x2b26, v44
	v_mul_f16_e32 v35, 0x2b26, v35
	v_fma_f16 v18, v20, s17, -v18
	v_fma_f16 v20, v21, s16, -v45
	v_mul_f16_e32 v21, 0x3b00, v21
	v_fma_f16 v22, v17, s14, -v22
	v_fma_f16 v17, v17, s15, -v43
	;; [unrolled: 1-line block ×5, first 2 shown]
	v_add_f16_e32 v22, v22, v34
	v_add_f16_e32 v17, v17, v34
	;; [unrolled: 1-line block ×3, first 2 shown]
	v_fma_f16 v36, v48, s0, v18
	v_fma_f16 v20, v46, s0, v20
	;; [unrolled: 1-line block ×3, first 2 shown]
	v_add_f16_e32 v33, v35, v37
	v_fma_f16 v35, v48, s0, v38
	v_add_f16_e32 v21, v18, v17
	v_sub_f16_e32 v18, v17, v18
	v_add_f16_e32 v17, v20, v22
	v_sub_f16_e32 v20, v22, v20
	v_sub_f16_e32 v22, v34, v36
	v_pack_b32_f16 v21, v21, v22
	v_add_f16_e32 v22, v35, v33
	v_pack_b32_f16 v20, v20, v22
	v_sub_f16_e32 v33, v33, v35
	v_add_f16_e32 v34, v36, v34
	ds_write2_b32 v23, v21, v20 offset0:56 offset1:84
	v_pack_b32_f16 v20, v17, v33
	v_pack_b32_f16 v21, v18, v34
	v_add_f16_e32 v35, v51, v50
	ds_write2_b32 v23, v20, v21 offset0:112 offset1:140
	v_pack_b32_f16 v20, v13, v35
	ds_write_b32 v23, v20 offset:672
	s_waitcnt lgkmcnt(0)
	; wave barrier
	s_waitcnt lgkmcnt(0)
	global_load_dword v22, v[8:9], off offset:784
	s_add_u32 s0, s12, 0x310
	s_addc_u32 s1, s13, 0
	global_load_dword v36, v19, s[0:1] offset:196
	global_load_dword v37, v19, s[0:1] offset:392
	;; [unrolled: 1-line block ×3, first 2 shown]
	ds_read2_b32 v[20:21], v23 offset1:49
	s_waitcnt lgkmcnt(0)
	v_lshrrev_b32_e32 v39, 16, v20
	s_waitcnt vmcnt(3)
	v_mul_f16_sdwa v40, v20, v22 dst_sel:DWORD dst_unused:UNUSED_PAD src0_sel:DWORD src1_sel:WORD_1
	v_fma_f16 v40, v39, v22, v40
	v_mul_f16_sdwa v39, v39, v22 dst_sel:DWORD dst_unused:UNUSED_PAD src0_sel:DWORD src1_sel:WORD_1
	v_fma_f16 v22, v20, v22, -v39
	v_lshrrev_b32_e32 v39, 16, v21
	s_waitcnt vmcnt(2)
	v_mul_f16_sdwa v20, v39, v36 dst_sel:DWORD dst_unused:UNUSED_PAD src0_sel:DWORD src1_sel:WORD_1
	v_fma_f16 v41, v21, v36, -v20
	v_mul_f16_sdwa v42, v21, v36 dst_sel:DWORD dst_unused:UNUSED_PAD src0_sel:DWORD src1_sel:WORD_1
	ds_read2_b32 v[20:21], v23 offset0:98 offset1:147
	v_fma_f16 v36, v39, v36, v42
	v_pack_b32_f16 v22, v22, v40
	v_pack_b32_f16 v36, v41, v36
	ds_write2_b32 v23, v22, v36 offset1:49
	s_waitcnt lgkmcnt(1)
	v_lshrrev_b32_e32 v22, 16, v20
	s_waitcnt vmcnt(1)
	v_mul_f16_sdwa v36, v20, v37 dst_sel:DWORD dst_unused:UNUSED_PAD src0_sel:DWORD src1_sel:WORD_1
	v_fma_f16 v36, v22, v37, v36
	v_mul_f16_sdwa v22, v22, v37 dst_sel:DWORD dst_unused:UNUSED_PAD src0_sel:DWORD src1_sel:WORD_1
	v_fma_f16 v20, v20, v37, -v22
	v_lshrrev_b32_e32 v22, 16, v21
	s_waitcnt vmcnt(0)
	v_mul_f16_sdwa v37, v22, v38 dst_sel:DWORD dst_unused:UNUSED_PAD src0_sel:DWORD src1_sel:WORD_1
	v_fma_f16 v37, v21, v38, -v37
	v_mul_f16_sdwa v21, v21, v38 dst_sel:DWORD dst_unused:UNUSED_PAD src0_sel:DWORD src1_sel:WORD_1
	v_fma_f16 v21, v22, v38, v21
	v_pack_b32_f16 v20, v20, v36
	v_pack_b32_f16 v21, v37, v21
	ds_write2_b32 v23, v20, v21 offset0:98 offset1:147
	s_and_saveexec_b64 s[2:3], vcc
	s_cbranch_execz .LBB0_9
; %bb.8:
	v_mov_b32_e32 v20, s1
	v_add_co_u32_e64 v19, s[0:1], s0, v19
	v_addc_co_u32_e64 v20, s[0:1], 0, v20, s[0:1]
	global_load_dword v36, v[19:20], off offset:112
	global_load_dword v37, v[19:20], off offset:308
	global_load_dword v38, v[19:20], off offset:504
	global_load_dword v39, v[19:20], off offset:700
	ds_read2_b32 v[19:20], v23 offset0:28 offset1:77
	ds_read2_b32 v[21:22], v23 offset0:126 offset1:175
	s_waitcnt lgkmcnt(1)
	v_lshrrev_b32_e32 v40, 16, v19
	v_lshrrev_b32_e32 v41, 16, v20
	s_waitcnt lgkmcnt(0)
	v_lshrrev_b32_e32 v42, 16, v21
	v_lshrrev_b32_e32 v43, 16, v22
	s_waitcnt vmcnt(3)
	v_mul_f16_sdwa v44, v40, v36 dst_sel:DWORD dst_unused:UNUSED_PAD src0_sel:DWORD src1_sel:WORD_1
	v_mul_f16_sdwa v45, v19, v36 dst_sel:DWORD dst_unused:UNUSED_PAD src0_sel:DWORD src1_sel:WORD_1
	s_waitcnt vmcnt(2)
	v_mul_f16_sdwa v46, v41, v37 dst_sel:DWORD dst_unused:UNUSED_PAD src0_sel:DWORD src1_sel:WORD_1
	v_mul_f16_sdwa v47, v20, v37 dst_sel:DWORD dst_unused:UNUSED_PAD src0_sel:DWORD src1_sel:WORD_1
	;; [unrolled: 3-line block ×4, first 2 shown]
	v_fma_f16 v19, v19, v36, -v44
	v_fma_f16 v36, v40, v36, v45
	v_fma_f16 v20, v20, v37, -v46
	v_fma_f16 v37, v41, v37, v47
	;; [unrolled: 2-line block ×4, first 2 shown]
	v_pack_b32_f16 v19, v19, v36
	v_pack_b32_f16 v20, v20, v37
	;; [unrolled: 1-line block ×4, first 2 shown]
	ds_write2_b32 v23, v19, v20 offset0:28 offset1:77
	ds_write2_b32 v23, v21, v22 offset0:126 offset1:175
.LBB0_9:
	s_or_b64 exec, exec, s[2:3]
	s_waitcnt lgkmcnt(0)
	; wave barrier
	s_waitcnt lgkmcnt(0)
	ds_read2_b32 v[19:20], v23 offset1:49
	ds_read2_b32 v[21:22], v23 offset0:98 offset1:147
	v_lshrrev_b32_e32 v32, 16, v32
	s_and_saveexec_b64 s[0:1], vcc
	s_cbranch_execz .LBB0_11
; %bb.10:
	ds_read2_b32 v[17:18], v23 offset0:28 offset1:77
	ds_read2_b32 v[13:14], v23 offset0:126 offset1:175
	s_waitcnt lgkmcnt(1)
	v_lshrrev_b32_e32 v33, 16, v17
	v_lshrrev_b32_e32 v34, 16, v18
	s_waitcnt lgkmcnt(0)
	v_lshrrev_b32_e32 v35, 16, v13
	v_lshrrev_b32_e32 v32, 16, v14
.LBB0_11:
	s_or_b64 exec, exec, s[0:1]
	s_waitcnt lgkmcnt(0)
	v_pk_add_f16 v21, v19, v21 neg_lo:[0,1] neg_hi:[0,1]
	v_pk_add_f16 v22, v20, v22 neg_lo:[0,1] neg_hi:[0,1]
	v_lshrrev_b32_e32 v37, 16, v21
	v_add_f16_sdwa v36, v21, v22 dst_sel:DWORD dst_unused:UNUSED_PAD src0_sel:DWORD src1_sel:WORD_1
	v_sub_f16_e32 v38, v37, v22
	v_pk_fma_f16 v19, v19, 2.0, v21 op_sel_hi:[1,0,1] neg_lo:[0,0,1] neg_hi:[0,0,1]
	v_pk_fma_f16 v20, v20, 2.0, v22 op_sel_hi:[1,0,1] neg_lo:[0,0,1] neg_hi:[0,0,1]
	v_fma_f16 v39, v21, 2.0, -v36
	v_fma_f16 v37, v37, 2.0, -v38
	v_pk_add_f16 v21, v19, v20 neg_lo:[0,1] neg_hi:[0,1]
	v_pk_fma_f16 v19, v19, 2.0, v21 op_sel_hi:[1,0,1] neg_lo:[0,0,1] neg_hi:[0,0,1]
	v_pack_b32_f16 v22, v36, v38
	v_pack_b32_f16 v20, v39, v37
	s_waitcnt lgkmcnt(0)
	; wave barrier
	ds_write_b128 v30, v[19:22]
	s_and_saveexec_b64 s[0:1], vcc
	s_cbranch_execz .LBB0_13
; %bb.12:
	v_sub_f16_e32 v13, v17, v13
	v_sub_f16_e32 v19, v34, v32
	v_add_f16_e32 v20, v19, v13
	v_sub_f16_e32 v22, v33, v35
	v_sub_f16_e32 v14, v18, v14
	v_fma_f16 v21, v13, 2.0, -v20
	v_sub_f16_e32 v30, v22, v14
	v_fma_f16 v13, v17, 2.0, -v13
	v_fma_f16 v14, v18, 2.0, -v14
	;; [unrolled: 1-line block ×4, first 2 shown]
	v_sub_f16_e32 v14, v13, v14
	v_sub_f16_e32 v18, v17, v18
	v_fma_f16 v32, v22, 2.0, -v30
	v_fma_f16 v13, v13, 2.0, -v14
	;; [unrolled: 1-line block ×3, first 2 shown]
	v_pack_b32_f16 v20, v20, v30
	v_pack_b32_f16 v19, v14, v18
	;; [unrolled: 1-line block ×4, first 2 shown]
	ds_write_b128 v29, v[17:20]
.LBB0_13:
	s_or_b64 exec, exec, s[0:1]
	s_waitcnt lgkmcnt(0)
	; wave barrier
	s_waitcnt lgkmcnt(0)
	ds_read2_b32 v[13:14], v23 offset1:28
	ds_read2_b32 v[17:18], v23 offset0:56 offset1:84
	ds_read2_b32 v[19:20], v23 offset0:112 offset1:140
	ds_read_b32 v22, v23 offset:672
	s_movk_i32 s0, 0x2b26
	s_waitcnt lgkmcnt(3)
	v_lshrrev_b32_e32 v21, 16, v14
	v_mul_f16_sdwa v35, v0, v21 dst_sel:DWORD dst_unused:UNUSED_PAD src0_sel:WORD_1 src1_sel:DWORD
	s_waitcnt lgkmcnt(2)
	v_lshrrev_b32_e32 v29, 16, v17
	v_fma_f16 v35, v0, v14, v35
	v_mul_f16_sdwa v14, v0, v14 dst_sel:DWORD dst_unused:UNUSED_PAD src0_sel:WORD_1 src1_sel:DWORD
	v_fma_f16 v0, v0, v21, -v14
	v_mul_f16_sdwa v14, v1, v29 dst_sel:DWORD dst_unused:UNUSED_PAD src0_sel:WORD_1 src1_sel:DWORD
	v_lshrrev_b32_e32 v30, 16, v18
	v_fma_f16 v14, v1, v17, v14
	v_mul_f16_sdwa v17, v1, v17 dst_sel:DWORD dst_unused:UNUSED_PAD src0_sel:WORD_1 src1_sel:DWORD
	v_fma_f16 v1, v1, v29, -v17
	v_mul_f16_sdwa v17, v2, v30 dst_sel:DWORD dst_unused:UNUSED_PAD src0_sel:WORD_1 src1_sel:DWORD
	s_waitcnt lgkmcnt(1)
	v_lshrrev_b32_e32 v32, 16, v19
	v_fma_f16 v17, v2, v18, v17
	v_mul_f16_sdwa v18, v2, v18 dst_sel:DWORD dst_unused:UNUSED_PAD src0_sel:WORD_1 src1_sel:DWORD
	v_fma_f16 v2, v2, v30, -v18
	v_mul_f16_sdwa v18, v3, v32 dst_sel:DWORD dst_unused:UNUSED_PAD src0_sel:WORD_1 src1_sel:DWORD
	v_lshrrev_b32_e32 v33, 16, v20
	v_fma_f16 v18, v3, v19, v18
	v_mul_f16_sdwa v19, v3, v19 dst_sel:DWORD dst_unused:UNUSED_PAD src0_sel:WORD_1 src1_sel:DWORD
	v_fma_f16 v3, v3, v32, -v19
	v_mul_f16_sdwa v19, v11, v33 dst_sel:DWORD dst_unused:UNUSED_PAD src0_sel:WORD_1 src1_sel:DWORD
	s_waitcnt lgkmcnt(0)
	v_lshrrev_b32_e32 v34, 16, v22
	v_fma_f16 v19, v11, v20, v19
	v_mul_f16_sdwa v20, v11, v20 dst_sel:DWORD dst_unused:UNUSED_PAD src0_sel:WORD_1 src1_sel:DWORD
	v_fma_f16 v11, v11, v33, -v20
	v_mul_f16_sdwa v20, v12, v34 dst_sel:DWORD dst_unused:UNUSED_PAD src0_sel:WORD_1 src1_sel:DWORD
	v_mul_f16_sdwa v21, v12, v22 dst_sel:DWORD dst_unused:UNUSED_PAD src0_sel:WORD_1 src1_sel:DWORD
	v_fma_f16 v20, v12, v22, v20
	v_fma_f16 v12, v12, v34, -v21
	v_add_f16_e32 v21, v35, v20
	v_add_f16_e32 v22, v0, v12
	v_sub_f16_e32 v0, v0, v12
	v_add_f16_e32 v12, v14, v19
	v_add_f16_e32 v29, v1, v11
	v_sub_f16_e32 v20, v35, v20
	v_sub_f16_e32 v14, v14, v19
	;; [unrolled: 1-line block ×3, first 2 shown]
	v_add_f16_e32 v11, v17, v18
	v_add_f16_e32 v19, v2, v3
	v_sub_f16_e32 v17, v18, v17
	v_sub_f16_e32 v2, v3, v2
	v_add_f16_e32 v3, v12, v21
	v_add_f16_e32 v18, v29, v22
	v_sub_f16_e32 v30, v12, v21
	v_sub_f16_e32 v32, v29, v22
	;; [unrolled: 1-line block ×6, first 2 shown]
	v_add_f16_e32 v33, v17, v14
	v_add_f16_e32 v34, v2, v1
	v_sub_f16_e32 v35, v17, v14
	v_sub_f16_e32 v36, v2, v1
	;; [unrolled: 1-line block ×4, first 2 shown]
	v_add_f16_e32 v3, v11, v3
	v_add_f16_e32 v11, v19, v18
	v_sub_f16_e32 v17, v20, v17
	v_sub_f16_e32 v2, v0, v2
	v_add_f16_e32 v18, v33, v20
	v_add_f16_e32 v0, v34, v0
	;; [unrolled: 1-line block ×3, first 2 shown]
	v_add_f16_sdwa v13, v13, v11 dst_sel:DWORD dst_unused:UNUSED_PAD src0_sel:WORD_1 src1_sel:DWORD
	v_mul_f16_e32 v20, 0x3a52, v21
	v_mul_f16_e32 v21, 0x3a52, v22
	;; [unrolled: 1-line block ×6, first 2 shown]
	s_mov_b32 s1, 0xbb00
	v_mul_f16_e32 v36, 0xbb00, v14
	v_mul_f16_e32 v37, 0xbb00, v1
	s_mov_b32 s2, 0xbcab
	s_movk_i32 s3, 0x39e0
	s_mov_b32 s4, 0xb9e0
	s_mov_b32 s5, 0xb574
	s_movk_i32 s12, 0x3574
	v_fma_f16 v3, v3, s2, v19
	v_fma_f16 v11, v11, s2, v13
	;; [unrolled: 1-line block ×4, first 2 shown]
	v_fma_f16 v22, v30, s3, -v22
	v_fma_f16 v33, v32, s3, -v33
	v_fma_f16 v20, v30, s4, -v20
	v_fma_f16 v21, v32, s4, -v21
	v_fma_f16 v30, v17, s5, v34
	v_fma_f16 v32, v2, s5, v35
	v_fma_f16 v14, v14, s1, -v34
	v_fma_f16 v1, v1, s1, -v35
	;; [unrolled: 1-line block ×4, first 2 shown]
	s_mov_b32 s13, 0xb70e
	v_add_f16_e32 v12, v12, v3
	v_add_f16_e32 v29, v29, v11
	;; [unrolled: 1-line block ×6, first 2 shown]
	v_fma_f16 v20, v18, s13, v30
	v_fma_f16 v21, v0, s13, v32
	;; [unrolled: 1-line block ×6, first 2 shown]
	v_add_f16_e32 v2, v21, v12
	v_sub_f16_e32 v18, v29, v20
	v_add_f16_e32 v30, v0, v3
	v_sub_f16_e32 v34, v22, v1
	v_add_f16_e32 v35, v14, v33
	v_add_f16_e32 v1, v1, v22
	v_sub_f16_e32 v14, v33, v14
	v_sub_f16_e32 v0, v3, v0
	v_add_f16_e32 v3, v17, v11
	v_sub_f16_e32 v32, v11, v17
	v_sub_f16_e32 v11, v12, v21
	v_add_f16_e32 v12, v20, v29
	v_pack_b32_f16 v13, v19, v13
	v_pack_b32_f16 v2, v2, v18
	;; [unrolled: 1-line block ×4, first 2 shown]
	s_waitcnt lgkmcnt(0)
	; wave barrier
	ds_write2_b32 v31, v13, v2 offset1:4
	v_pack_b32_f16 v2, v30, v32
	v_pack_b32_f16 v13, v34, v35
	ds_write2_b32 v31, v1, v0 offset0:16 offset1:20
	v_pack_b32_f16 v0, v11, v12
	ds_write2_b32 v31, v2, v13 offset0:8 offset1:12
	ds_write_b32 v31, v0 offset:96
	s_waitcnt lgkmcnt(0)
	; wave barrier
	s_waitcnt lgkmcnt(0)
	ds_read2_b32 v[0:1], v23 offset1:28
	ds_read2_b32 v[2:3], v23 offset0:56 offset1:84
	ds_read2_b32 v[11:12], v23 offset0:112 offset1:140
	ds_read_b32 v14, v23 offset:672
	s_movk_i32 s14, 0x40f
	s_waitcnt lgkmcnt(3)
	v_lshrrev_b32_e32 v13, 16, v1
	v_mul_f16_sdwa v22, v4, v13 dst_sel:DWORD dst_unused:UNUSED_PAD src0_sel:WORD_1 src1_sel:DWORD
	s_waitcnt lgkmcnt(2)
	v_lshrrev_b32_e32 v17, 16, v2
	v_fma_f16 v22, v4, v1, v22
	v_mul_f16_sdwa v1, v4, v1 dst_sel:DWORD dst_unused:UNUSED_PAD src0_sel:WORD_1 src1_sel:DWORD
	v_fma_f16 v1, v4, v13, -v1
	v_mul_f16_sdwa v4, v5, v17 dst_sel:DWORD dst_unused:UNUSED_PAD src0_sel:WORD_1 src1_sel:DWORD
	v_lshrrev_b32_e32 v18, 16, v3
	v_fma_f16 v4, v5, v2, v4
	v_mul_f16_sdwa v2, v5, v2 dst_sel:DWORD dst_unused:UNUSED_PAD src0_sel:WORD_1 src1_sel:DWORD
	v_fma_f16 v2, v5, v17, -v2
	v_mul_f16_sdwa v5, v6, v18 dst_sel:DWORD dst_unused:UNUSED_PAD src0_sel:WORD_1 src1_sel:DWORD
	s_waitcnt lgkmcnt(1)
	v_lshrrev_b32_e32 v19, 16, v11
	v_fma_f16 v5, v6, v3, v5
	v_mul_f16_sdwa v3, v6, v3 dst_sel:DWORD dst_unused:UNUSED_PAD src0_sel:WORD_1 src1_sel:DWORD
	v_fma_f16 v3, v6, v18, -v3
	v_mul_f16_sdwa v6, v7, v19 dst_sel:DWORD dst_unused:UNUSED_PAD src0_sel:WORD_1 src1_sel:DWORD
	v_lshrrev_b32_e32 v20, 16, v12
	s_waitcnt lgkmcnt(0)
	v_lshrrev_b32_e32 v21, 16, v14
	v_fma_f16 v6, v7, v11, v6
	v_mul_f16_sdwa v11, v7, v11 dst_sel:DWORD dst_unused:UNUSED_PAD src0_sel:WORD_1 src1_sel:DWORD
	v_fma_f16 v7, v7, v19, -v11
	v_mul_f16_sdwa v11, v15, v20 dst_sel:DWORD dst_unused:UNUSED_PAD src0_sel:WORD_1 src1_sel:DWORD
	v_mul_f16_sdwa v13, v16, v21 dst_sel:DWORD dst_unused:UNUSED_PAD src0_sel:WORD_1 src1_sel:DWORD
	v_fma_f16 v11, v15, v12, v11
	v_mul_f16_sdwa v12, v15, v12 dst_sel:DWORD dst_unused:UNUSED_PAD src0_sel:WORD_1 src1_sel:DWORD
	v_fma_f16 v13, v16, v14, v13
	v_mul_f16_sdwa v14, v16, v14 dst_sel:DWORD dst_unused:UNUSED_PAD src0_sel:WORD_1 src1_sel:DWORD
	v_fma_f16 v12, v15, v20, -v12
	v_fma_f16 v14, v16, v21, -v14
	v_add_f16_e32 v15, v22, v13
	v_add_f16_e32 v16, v1, v14
	v_sub_f16_e32 v1, v1, v14
	v_add_f16_e32 v14, v4, v11
	v_add_f16_e32 v17, v2, v12
	v_sub_f16_e32 v4, v4, v11
	v_sub_f16_e32 v2, v2, v12
	v_add_f16_e32 v11, v5, v6
	v_add_f16_e32 v12, v3, v7
	v_sub_f16_e32 v5, v6, v5
	;; [unrolled: 4-line block ×3, first 2 shown]
	v_sub_f16_e32 v18, v14, v15
	v_sub_f16_e32 v19, v17, v16
	;; [unrolled: 1-line block ×6, first 2 shown]
	v_add_f16_e32 v20, v5, v4
	v_add_f16_e32 v21, v3, v2
	v_sub_f16_e32 v22, v5, v4
	v_sub_f16_e32 v29, v3, v2
	v_add_f16_e32 v6, v11, v6
	v_add_f16_e32 v7, v12, v7
	v_sub_f16_e32 v5, v13, v5
	v_sub_f16_e32 v3, v1, v3
	;; [unrolled: 1-line block ×4, first 2 shown]
	v_add_f16_e32 v11, v20, v13
	v_add_f16_e32 v1, v21, v1
	;; [unrolled: 1-line block ×3, first 2 shown]
	v_add_f16_sdwa v0, v0, v7 dst_sel:DWORD dst_unused:UNUSED_PAD src0_sel:WORD_1 src1_sel:DWORD
	v_mul_f16_e32 v13, 0x3a52, v15
	v_mul_f16_e32 v15, 0x3a52, v16
	;; [unrolled: 1-line block ×8, first 2 shown]
	v_fma_f16 v6, v6, s2, v12
	v_fma_f16 v7, v7, s2, v0
	;; [unrolled: 1-line block ×4, first 2 shown]
	v_fma_f16 v16, v18, s3, -v16
	v_fma_f16 v20, v19, s3, -v20
	v_fma_f16 v13, v18, s4, -v13
	v_fma_f16 v15, v19, s4, -v15
	v_fma_f16 v18, v5, s5, v21
	v_fma_f16 v19, v3, s5, v22
	v_fma_f16 v4, v4, s1, -v21
	v_fma_f16 v2, v2, s1, -v22
	;; [unrolled: 1-line block ×4, first 2 shown]
	v_add_f16_e32 v14, v14, v6
	v_add_f16_e32 v17, v17, v7
	;; [unrolled: 1-line block ×6, first 2 shown]
	v_fma_f16 v13, v11, s13, v18
	v_fma_f16 v15, v1, s13, v19
	;; [unrolled: 1-line block ×6, first 2 shown]
	v_add_f16_e32 v3, v15, v14
	v_sub_f16_e32 v11, v17, v13
	v_add_f16_e32 v18, v1, v6
	v_sub_f16_e32 v19, v7, v5
	v_sub_f16_e32 v21, v16, v2
	v_add_f16_e32 v22, v4, v20
	v_pack_b32_f16 v0, v12, v0
	v_pack_b32_f16 v3, v3, v11
	v_add_f16_e32 v2, v2, v16
	v_sub_f16_e32 v4, v20, v4
	v_sub_f16_e32 v1, v6, v1
	v_add_f16_e32 v5, v5, v7
	ds_write2_b32 v23, v0, v3 offset1:28
	v_pack_b32_f16 v0, v18, v19
	v_pack_b32_f16 v3, v21, v22
	v_sub_f16_e32 v6, v14, v15
	v_add_f16_e32 v7, v13, v17
	ds_write2_b32 v23, v0, v3 offset0:56 offset1:84
	v_pack_b32_f16 v0, v2, v4
	v_pack_b32_f16 v1, v1, v5
	ds_write2_b32 v23, v0, v1 offset0:112 offset1:140
	v_pack_b32_f16 v0, v6, v7
	ds_write_b32 v23, v0 offset:672
	s_waitcnt lgkmcnt(0)
	; wave barrier
	s_waitcnt lgkmcnt(0)
	ds_read2_b32 v[0:1], v23 offset1:49
	s_mov_b32 s12, 0xa72f0539
	s_mov_b32 s13, 0x3f74e5e0
	v_mad_u64_u32 v[3:4], s[0:1], s10, v10, 0
	s_waitcnt lgkmcnt(0)
	v_lshrrev_b32_e32 v7, 16, v0
	v_mul_f16_sdwa v2, v28, v7 dst_sel:DWORD dst_unused:UNUSED_PAD src0_sel:WORD_1 src1_sel:DWORD
	v_fma_f16 v2, v28, v0, v2
	v_cvt_f32_f16_e32 v2, v2
	s_movk_i32 s10, 0x1ff
	v_mul_f16_sdwa v0, v28, v0 dst_sel:DWORD dst_unused:UNUSED_PAD src0_sel:WORD_1 src1_sel:DWORD
	v_fma_f16 v0, v28, v7, -v0
	v_cvt_f64_f32_e32 v[5:6], v2
	v_mov_b32_e32 v2, v4
	v_mad_u64_u32 v[10:11], s[0:1], s11, v10, v[2:3]
	v_mul_f64 v[5:6], v[5:6], s[12:13]
	s_movk_i32 s11, 0xffe
	v_mov_b32_e32 v4, v10
	v_cvt_f32_f16_e32 v0, v0
	s_mov_b32 s15, 0x8000
	v_lshlrev_b64 v[3:4], 2, v[3:4]
	v_and_or_b32 v2, v6, s10, v5
	v_cmp_ne_u32_e64 s[0:1], 0, v2
	v_cndmask_b32_e64 v2, 0, 1, s[0:1]
	v_lshrrev_b32_e32 v5, 8, v6
	v_bfe_u32 v10, v6, 20, 11
	v_and_or_b32 v5, v5, s11, v2
	v_sub_u32_e32 v11, 0x3f1, v10
	v_or_b32_e32 v2, 0x1000, v5
	v_med3_i32 v11, v11, 0, 13
	v_lshrrev_b32_e32 v12, v11, v2
	v_lshlrev_b32_e32 v11, v11, v12
	v_cmp_ne_u32_e64 s[0:1], v11, v2
	v_cndmask_b32_e64 v2, 0, 1, s[0:1]
	v_or_b32_e32 v2, v12, v2
	v_add_u32_e32 v12, 0xfffffc10, v10
	v_lshl_or_b32 v10, v12, 12, v5
	v_cmp_gt_i32_e64 s[0:1], 1, v12
	v_cndmask_b32_e64 v2, v10, v2, s[0:1]
	v_and_b32_e32 v10, 7, v2
	v_cmp_lt_i32_e64 s[0:1], 5, v10
	v_cmp_eq_u32_e64 s[2:3], 3, v10
	v_cvt_f64_f32_e32 v[10:11], v0
	v_lshrrev_b32_e32 v2, 2, v2
	s_or_b64 s[0:1], s[2:3], s[0:1]
	v_addc_co_u32_e64 v7, s[0:1], 0, v2, s[0:1]
	v_mul_f64 v[10:11], v[10:11], s[12:13]
	v_mov_b32_e32 v2, 0x7c00
	v_cmp_gt_i32_e64 s[0:1], 31, v12
	v_cndmask_b32_e64 v0, v2, v7, s[0:1]
	v_cmp_ne_u32_e64 s[0:1], 0, v5
	v_cndmask_b32_e64 v5, 0, 1, s[0:1]
	v_lshl_or_b32 v5, v5, 9, v2
	v_cmp_eq_u32_e64 s[0:1], s14, v12
	v_cndmask_b32_e64 v0, v0, v5, s[0:1]
	v_lshrrev_b32_e32 v5, 16, v6
	v_and_or_b32 v12, v5, s15, v0
	v_and_or_b32 v0, v11, s10, v10
	v_cmp_ne_u32_e64 s[0:1], 0, v0
	v_cndmask_b32_e64 v0, 0, 1, s[0:1]
	v_lshrrev_b32_e32 v5, 8, v11
	v_bfe_u32 v6, v11, 20, 11
	v_and_or_b32 v0, v5, s11, v0
	v_sub_u32_e32 v7, 0x3f1, v6
	v_or_b32_e32 v5, 0x1000, v0
	v_med3_i32 v7, v7, 0, 13
	v_lshrrev_b32_e32 v10, v7, v5
	v_lshlrev_b32_e32 v7, v7, v10
	v_cmp_ne_u32_e64 s[0:1], v7, v5
	v_cndmask_b32_e64 v5, 0, 1, s[0:1]
	v_add_u32_e32 v7, 0xfffffc10, v6
	v_or_b32_e32 v5, v10, v5
	v_lshl_or_b32 v6, v7, 12, v0
	v_cmp_gt_i32_e64 s[0:1], 1, v7
	v_cndmask_b32_e64 v5, v6, v5, s[0:1]
	v_and_b32_e32 v6, 7, v5
	v_cmp_lt_i32_e64 s[0:1], 5, v6
	v_cmp_eq_u32_e64 s[2:3], 3, v6
	v_lshrrev_b32_e32 v5, 2, v5
	s_or_b64 s[0:1], s[2:3], s[0:1]
	v_addc_co_u32_e64 v5, s[0:1], 0, v5, s[0:1]
	v_cmp_gt_i32_e64 s[0:1], 31, v7
	v_cndmask_b32_e64 v10, v2, v5, s[0:1]
	v_cmp_ne_u32_e64 s[0:1], 0, v0
	v_cndmask_b32_e64 v0, 0, 1, s[0:1]
	v_mad_u64_u32 v[5:6], s[0:1], s8, v27, 0
	v_lshl_or_b32 v0, v0, 9, v2
	v_cmp_eq_u32_e64 s[0:1], s14, v7
	v_cndmask_b32_e64 v10, v10, v0, s[0:1]
	v_mov_b32_e32 v0, v6
	v_mad_u64_u32 v[6:7], s[0:1], s9, v27, v[0:1]
	v_lshrrev_b32_e32 v0, 16, v1
	v_mul_f16_sdwa v7, v26, v0 dst_sel:DWORD dst_unused:UNUSED_PAD src0_sel:WORD_1 src1_sel:DWORD
	v_fma_f16 v7, v26, v1, v7
	v_cvt_f32_f16_e32 v7, v7
	v_lshrrev_b32_e32 v11, 16, v11
	v_and_or_b32 v13, v11, s15, v10
	v_and_b32_e32 v12, 0xffff, v12
	v_cvt_f64_f32_e32 v[10:11], v7
	v_lshl_or_b32 v7, v13, 16, v12
	v_mov_b32_e32 v12, s7
	v_add_co_u32_e64 v13, s[0:1], s6, v3
	v_mul_f64 v[10:11], v[10:11], s[12:13]
	v_addc_co_u32_e64 v12, s[0:1], v12, v4, s[0:1]
	v_lshlrev_b64 v[3:4], 2, v[5:6]
	v_mul_f16_sdwa v1, v26, v1 dst_sel:DWORD dst_unused:UNUSED_PAD src0_sel:WORD_1 src1_sel:DWORD
	v_add_co_u32_e64 v3, s[0:1], v13, v3
	v_addc_co_u32_e64 v4, s[0:1], v12, v4, s[0:1]
	v_and_or_b32 v5, v11, s10, v10
	v_cmp_ne_u32_e64 s[0:1], 0, v5
	v_fma_f16 v0, v26, v0, -v1
	global_store_dword v[3:4], v7, off
	v_cndmask_b32_e64 v5, 0, 1, s[0:1]
	v_lshrrev_b32_e32 v6, 8, v11
	v_bfe_u32 v7, v11, 20, 11
	v_cvt_f32_f16_e32 v0, v0
	v_and_or_b32 v5, v6, s11, v5
	v_sub_u32_e32 v10, 0x3f1, v7
	v_or_b32_e32 v6, 0x1000, v5
	v_med3_i32 v10, v10, 0, 13
	v_lshrrev_b32_e32 v12, v10, v6
	v_lshlrev_b32_e32 v10, v10, v12
	v_cvt_f64_f32_e32 v[0:1], v0
	v_cmp_ne_u32_e64 s[0:1], v10, v6
	v_cndmask_b32_e64 v6, 0, 1, s[0:1]
	v_add_u32_e32 v7, 0xfffffc10, v7
	v_or_b32_e32 v6, v12, v6
	v_lshl_or_b32 v10, v7, 12, v5
	v_cmp_gt_i32_e64 s[0:1], 1, v7
	v_cndmask_b32_e64 v6, v10, v6, s[0:1]
	v_mul_f64 v[0:1], v[0:1], s[12:13]
	v_and_b32_e32 v10, 7, v6
	v_cmp_lt_i32_e64 s[0:1], 5, v10
	v_cmp_eq_u32_e64 s[2:3], 3, v10
	v_lshrrev_b32_e32 v6, 2, v6
	s_or_b64 s[0:1], s[2:3], s[0:1]
	v_addc_co_u32_e64 v6, s[0:1], 0, v6, s[0:1]
	v_cmp_gt_i32_e64 s[0:1], 31, v7
	v_cndmask_b32_e64 v6, v2, v6, s[0:1]
	v_cmp_ne_u32_e64 s[0:1], 0, v5
	v_cndmask_b32_e64 v5, 0, 1, s[0:1]
	v_lshl_or_b32 v5, v5, 9, v2
	v_cmp_eq_u32_e64 s[0:1], s14, v7
	v_and_or_b32 v0, v1, s10, v0
	v_cndmask_b32_e64 v5, v6, v5, s[0:1]
	v_lshrrev_b32_e32 v6, 16, v11
	v_cmp_ne_u32_e64 s[0:1], 0, v0
	v_and_or_b32 v7, v6, s15, v5
	v_cndmask_b32_e64 v0, 0, 1, s[0:1]
	v_lshrrev_b32_e32 v5, 8, v1
	v_bfe_u32 v6, v1, 20, 11
	v_and_or_b32 v0, v5, s11, v0
	v_sub_u32_e32 v10, 0x3f1, v6
	v_or_b32_e32 v5, 0x1000, v0
	v_med3_i32 v10, v10, 0, 13
	v_lshrrev_b32_e32 v11, v10, v5
	v_lshlrev_b32_e32 v10, v10, v11
	v_cmp_ne_u32_e64 s[0:1], v10, v5
	v_cndmask_b32_e64 v5, 0, 1, s[0:1]
	v_add_u32_e32 v10, 0xfffffc10, v6
	v_or_b32_e32 v5, v11, v5
	v_lshl_or_b32 v6, v10, 12, v0
	v_cmp_gt_i32_e64 s[0:1], 1, v10
	v_cndmask_b32_e64 v5, v6, v5, s[0:1]
	v_and_b32_e32 v6, 7, v5
	v_cmp_lt_i32_e64 s[0:1], 5, v6
	v_cmp_eq_u32_e64 s[2:3], 3, v6
	v_lshrrev_b32_e32 v5, 2, v5
	s_or_b64 s[0:1], s[2:3], s[0:1]
	v_addc_co_u32_e64 v5, s[0:1], 0, v5, s[0:1]
	v_cmp_gt_i32_e64 s[0:1], 31, v10
	v_cndmask_b32_e64 v11, v2, v5, s[0:1]
	ds_read2_b32 v[5:6], v23 offset0:98 offset1:147
	v_cmp_ne_u32_e64 s[0:1], 0, v0
	v_cndmask_b32_e64 v0, 0, 1, s[0:1]
	v_lshl_or_b32 v0, v0, 9, v2
	v_cmp_eq_u32_e64 s[0:1], s14, v10
	v_cndmask_b32_e64 v0, v11, v0, s[0:1]
	v_lshrrev_b32_e32 v1, 16, v1
	s_waitcnt lgkmcnt(0)
	v_lshrrev_b32_e32 v11, 16, v5
	v_and_or_b32 v10, v1, s15, v0
	v_mul_f16_sdwa v0, v25, v11 dst_sel:DWORD dst_unused:UNUSED_PAD src0_sel:WORD_1 src1_sel:DWORD
	v_fma_f16 v0, v25, v5, v0
	v_cvt_f32_f16_e32 v0, v0
	s_mul_i32 s0, s9, 49
	s_mul_hi_u32 s1, s8, 49
	s_add_i32 s1, s1, s0
	v_cvt_f64_f32_e32 v[0:1], v0
	s_mul_i32 s0, s8, 49
	s_lshl_b64 s[6:7], s[0:1], 2
	v_mov_b32_e32 v12, s7
	v_mul_f64 v[0:1], v[0:1], s[12:13]
	v_add_co_u32_e64 v3, s[0:1], s6, v3
	v_and_b32_e32 v7, 0xffff, v7
	v_addc_co_u32_e64 v4, s[0:1], v4, v12, s[0:1]
	v_lshl_or_b32 v7, v10, 16, v7
	global_store_dword v[3:4], v7, off
	v_and_or_b32 v0, v1, s10, v0
	v_cmp_ne_u32_e64 s[0:1], 0, v0
	v_cndmask_b32_e64 v0, 0, 1, s[0:1]
	v_lshrrev_b32_e32 v7, 8, v1
	v_bfe_u32 v10, v1, 20, 11
	v_and_or_b32 v0, v7, s11, v0
	v_sub_u32_e32 v13, 0x3f1, v10
	v_or_b32_e32 v7, 0x1000, v0
	v_med3_i32 v13, v13, 0, 13
	v_lshrrev_b32_e32 v14, v13, v7
	v_lshlrev_b32_e32 v13, v13, v14
	v_mul_f16_sdwa v5, v25, v5 dst_sel:DWORD dst_unused:UNUSED_PAD src0_sel:WORD_1 src1_sel:DWORD
	v_cmp_ne_u32_e64 s[0:1], v13, v7
	v_fma_f16 v5, v25, v11, -v5
	v_cndmask_b32_e64 v7, 0, 1, s[0:1]
	v_add_u32_e32 v13, 0xfffffc10, v10
	v_cvt_f32_f16_e32 v5, v5
	v_or_b32_e32 v7, v14, v7
	v_lshl_or_b32 v10, v13, 12, v0
	v_cmp_gt_i32_e64 s[0:1], 1, v13
	v_cndmask_b32_e64 v7, v10, v7, s[0:1]
	v_and_b32_e32 v10, 7, v7
	v_cmp_lt_i32_e64 s[0:1], 5, v10
	v_cmp_eq_u32_e64 s[2:3], 3, v10
	v_cvt_f64_f32_e32 v[10:11], v5
	v_lshrrev_b32_e32 v7, 2, v7
	s_or_b64 s[0:1], s[2:3], s[0:1]
	v_addc_co_u32_e64 v5, s[0:1], 0, v7, s[0:1]
	v_mul_f64 v[10:11], v[10:11], s[12:13]
	v_cmp_gt_i32_e64 s[0:1], 31, v13
	v_cndmask_b32_e64 v5, v2, v5, s[0:1]
	v_cmp_ne_u32_e64 s[0:1], 0, v0
	v_cndmask_b32_e64 v0, 0, 1, s[0:1]
	v_lshl_or_b32 v0, v0, 9, v2
	v_cmp_eq_u32_e64 s[0:1], s14, v13
	v_cndmask_b32_e64 v0, v5, v0, s[0:1]
	v_lshrrev_b32_e32 v1, 16, v1
	v_and_or_b32 v5, v1, s15, v0
	v_and_or_b32 v0, v11, s10, v10
	v_cmp_ne_u32_e64 s[0:1], 0, v0
	v_cndmask_b32_e64 v0, 0, 1, s[0:1]
	v_lshrrev_b32_e32 v1, 8, v11
	v_bfe_u32 v7, v11, 20, 11
	v_and_or_b32 v0, v1, s11, v0
	v_sub_u32_e32 v10, 0x3f1, v7
	v_or_b32_e32 v1, 0x1000, v0
	v_med3_i32 v10, v10, 0, 13
	v_lshrrev_b32_e32 v13, v10, v1
	v_lshlrev_b32_e32 v10, v10, v13
	v_cmp_ne_u32_e64 s[0:1], v10, v1
	v_cndmask_b32_e64 v1, 0, 1, s[0:1]
	v_add_u32_e32 v7, 0xfffffc10, v7
	v_or_b32_e32 v1, v13, v1
	v_lshl_or_b32 v10, v7, 12, v0
	v_cmp_gt_i32_e64 s[0:1], 1, v7
	v_cndmask_b32_e64 v1, v10, v1, s[0:1]
	v_and_b32_e32 v10, 7, v1
	v_cmp_lt_i32_e64 s[0:1], 5, v10
	v_cmp_eq_u32_e64 s[2:3], 3, v10
	v_lshrrev_b32_e32 v1, 2, v1
	s_or_b64 s[0:1], s[2:3], s[0:1]
	v_addc_co_u32_e64 v1, s[0:1], 0, v1, s[0:1]
	v_cmp_gt_i32_e64 s[0:1], 31, v7
	v_lshrrev_b32_e32 v13, 16, v6
	v_cndmask_b32_e64 v10, v2, v1, s[0:1]
	v_mul_f16_sdwa v1, v24, v13 dst_sel:DWORD dst_unused:UNUSED_PAD src0_sel:WORD_1 src1_sel:DWORD
	v_fma_f16 v1, v24, v6, v1
	v_cvt_f32_f16_e32 v1, v1
	v_cmp_ne_u32_e64 s[0:1], 0, v0
	v_cndmask_b32_e64 v0, 0, 1, s[0:1]
	v_lshl_or_b32 v14, v0, 9, v2
	v_cvt_f64_f32_e32 v[0:1], v1
	v_cmp_eq_u32_e64 s[0:1], s14, v7
	v_cndmask_b32_e64 v7, v10, v14, s[0:1]
	v_lshrrev_b32_e32 v10, 16, v11
	v_mul_f64 v[0:1], v[0:1], s[12:13]
	v_add_co_u32_e64 v3, s[0:1], s6, v3
	v_and_or_b32 v7, v10, s15, v7
	v_and_b32_e32 v5, 0xffff, v5
	v_addc_co_u32_e64 v4, s[0:1], v4, v12, s[0:1]
	v_lshl_or_b32 v5, v7, 16, v5
	v_and_or_b32 v0, v1, s10, v0
	v_cmp_ne_u32_e64 s[0:1], 0, v0
	global_store_dword v[3:4], v5, off
	v_cndmask_b32_e64 v0, 0, 1, s[0:1]
	v_lshrrev_b32_e32 v5, 8, v1
	v_bfe_u32 v7, v1, 20, 11
	v_and_or_b32 v0, v5, s11, v0
	v_sub_u32_e32 v10, 0x3f1, v7
	v_or_b32_e32 v5, 0x1000, v0
	v_med3_i32 v10, v10, 0, 13
	v_lshrrev_b32_e32 v11, v10, v5
	v_lshlrev_b32_e32 v10, v10, v11
	v_mul_f16_sdwa v6, v24, v6 dst_sel:DWORD dst_unused:UNUSED_PAD src0_sel:WORD_1 src1_sel:DWORD
	v_cmp_ne_u32_e64 s[0:1], v10, v5
	v_fma_f16 v6, v24, v13, -v6
	v_cndmask_b32_e64 v5, 0, 1, s[0:1]
	v_add_u32_e32 v7, 0xfffffc10, v7
	v_cvt_f32_f16_e32 v6, v6
	v_or_b32_e32 v5, v11, v5
	v_lshl_or_b32 v10, v7, 12, v0
	v_cmp_gt_i32_e64 s[0:1], 1, v7
	v_cndmask_b32_e64 v5, v10, v5, s[0:1]
	v_and_b32_e32 v10, 7, v5
	v_cmp_lt_i32_e64 s[0:1], 5, v10
	v_cmp_eq_u32_e64 s[2:3], 3, v10
	v_lshrrev_b32_e32 v10, 2, v5
	v_cvt_f64_f32_e32 v[5:6], v6
	s_or_b64 s[0:1], s[2:3], s[0:1]
	v_addc_co_u32_e64 v10, s[0:1], 0, v10, s[0:1]
	v_mul_f64 v[5:6], v[5:6], s[12:13]
	v_cmp_gt_i32_e64 s[0:1], 31, v7
	v_cndmask_b32_e64 v10, v2, v10, s[0:1]
	v_cmp_ne_u32_e64 s[0:1], 0, v0
	v_cndmask_b32_e64 v0, 0, 1, s[0:1]
	v_lshl_or_b32 v0, v0, 9, v2
	v_cmp_eq_u32_e64 s[0:1], s14, v7
	v_cndmask_b32_e64 v0, v10, v0, s[0:1]
	v_lshrrev_b32_e32 v1, 16, v1
	v_and_or_b32 v0, v1, s15, v0
	v_and_or_b32 v1, v6, s10, v5
	v_cmp_ne_u32_e64 s[0:1], 0, v1
	v_cndmask_b32_e64 v1, 0, 1, s[0:1]
	v_lshrrev_b32_e32 v5, 8, v6
	v_bfe_u32 v7, v6, 20, 11
	v_and_or_b32 v1, v5, s11, v1
	v_sub_u32_e32 v10, 0x3f1, v7
	v_or_b32_e32 v5, 0x1000, v1
	v_med3_i32 v10, v10, 0, 13
	v_lshrrev_b32_e32 v11, v10, v5
	v_lshlrev_b32_e32 v10, v10, v11
	v_cmp_ne_u32_e64 s[0:1], v10, v5
	v_cndmask_b32_e64 v5, 0, 1, s[0:1]
	v_add_u32_e32 v7, 0xfffffc10, v7
	v_or_b32_e32 v5, v11, v5
	v_lshl_or_b32 v10, v7, 12, v1
	v_cmp_gt_i32_e64 s[0:1], 1, v7
	v_cndmask_b32_e64 v5, v10, v5, s[0:1]
	v_and_b32_e32 v10, 7, v5
	v_cmp_lt_i32_e64 s[0:1], 5, v10
	v_cmp_eq_u32_e64 s[2:3], 3, v10
	v_lshrrev_b32_e32 v5, 2, v5
	s_or_b64 s[0:1], s[2:3], s[0:1]
	v_addc_co_u32_e64 v5, s[0:1], 0, v5, s[0:1]
	v_cmp_gt_i32_e64 s[0:1], 31, v7
	v_cndmask_b32_e64 v5, v2, v5, s[0:1]
	v_cmp_ne_u32_e64 s[0:1], 0, v1
	v_cndmask_b32_e64 v1, 0, 1, s[0:1]
	v_lshl_or_b32 v1, v1, 9, v2
	v_cmp_eq_u32_e64 s[0:1], s14, v7
	v_cndmask_b32_e64 v1, v5, v1, s[0:1]
	v_lshrrev_b32_e32 v5, 16, v6
	v_and_or_b32 v1, v5, s15, v1
	v_and_b32_e32 v0, 0xffff, v0
	v_lshl_or_b32 v5, v1, 16, v0
	v_add_co_u32_e64 v0, s[0:1], s6, v3
	v_addc_co_u32_e64 v1, s[0:1], v4, v12, s[0:1]
	global_store_dword v[0:1], v5, off
	s_and_b64 exec, exec, vcc
	s_cbranch_execz .LBB0_15
; %bb.14:
	global_load_dword v5, v[8:9], off offset:112
	global_load_dword v11, v[8:9], off offset:308
	ds_read2_b32 v[3:4], v23 offset0:28 offset1:77
	global_load_dword v12, v[8:9], off offset:504
	global_load_dword v13, v[8:9], off offset:700
	v_mov_b32_e32 v10, 0xfffffe24
	v_mad_u64_u32 v[0:1], s[0:1], s8, v10, v[0:1]
	s_waitcnt lgkmcnt(0)
	v_lshrrev_b32_e32 v6, 16, v3
	v_lshrrev_b32_e32 v14, 16, v4
	s_mul_i32 s2, s9, 0xfffffe24
	s_sub_i32 s0, s2, s8
	v_add_u32_e32 v1, s0, v1
	s_waitcnt vmcnt(3)
	v_mul_f16_sdwa v7, v6, v5 dst_sel:DWORD dst_unused:UNUSED_PAD src0_sel:DWORD src1_sel:WORD_1
	v_mul_f16_sdwa v8, v3, v5 dst_sel:DWORD dst_unused:UNUSED_PAD src0_sel:DWORD src1_sel:WORD_1
	v_fma_f16 v3, v3, v5, v7
	v_cvt_f32_f16_e32 v3, v3
	s_waitcnt vmcnt(2)
	v_mul_f16_sdwa v7, v14, v11 dst_sel:DWORD dst_unused:UNUSED_PAD src0_sel:DWORD src1_sel:WORD_1
	v_fma_f16 v5, v5, v6, -v8
	v_cvt_f32_f16_e32 v8, v5
	v_cvt_f64_f32_e32 v[5:6], v3
	v_fma_f16 v3, v4, v11, v7
	v_cvt_f32_f16_e32 v3, v3
	v_cvt_f64_f32_e32 v[7:8], v8
	v_mul_f64 v[5:6], v[5:6], s[12:13]
	v_mul_f16_sdwa v4, v4, v11 dst_sel:DWORD dst_unused:UNUSED_PAD src0_sel:DWORD src1_sel:WORD_1
	v_cvt_f64_f32_e32 v[9:10], v3
	v_mul_f64 v[7:8], v[7:8], s[12:13]
	v_fma_f16 v4, v11, v14, -v4
	v_cvt_f32_f16_e32 v4, v4
	v_mul_f64 v[9:10], v[9:10], s[12:13]
	v_and_or_b32 v3, v6, s10, v5
	v_cmp_ne_u32_e32 vcc, 0, v3
	v_lshrrev_b32_e32 v5, 8, v6
	v_and_or_b32 v7, v8, s10, v7
	v_bfe_u32 v15, v6, 20, 11
	v_cndmask_b32_e64 v3, 0, 1, vcc
	v_and_or_b32 v9, v10, s10, v9
	v_cmp_ne_u32_e32 vcc, 0, v7
	v_lshrrev_b32_e32 v16, 8, v8
	v_bfe_u32 v17, v8, 20, 11
	v_bfe_u32 v19, v10, 20, 11
	v_sub_u32_e32 v20, 0x3f1, v15
	v_cndmask_b32_e64 v7, 0, 1, vcc
	v_cmp_ne_u32_e32 vcc, 0, v9
	v_and_or_b32 v3, v5, s11, v3
	v_lshrrev_b32_e32 v18, 8, v10
	v_sub_u32_e32 v21, 0x3f1, v17
	v_cndmask_b32_e64 v9, 0, 1, vcc
	v_sub_u32_e32 v22, 0x3f1, v19
	v_med3_i32 v5, v20, 0, 13
	v_and_or_b32 v7, v16, s11, v7
	v_or_b32_e32 v20, 0x1000, v3
	v_add_u32_e32 v15, 0xfffffc10, v15
	v_med3_i32 v16, v21, 0, 13
	v_and_or_b32 v9, v18, s11, v9
	v_med3_i32 v18, v22, 0, 13
	v_cmp_ne_u32_e32 vcc, 0, v3
	v_or_b32_e32 v22, 0x1000, v7
	v_lshrrev_b32_e32 v27, v5, v20
	v_add_u32_e32 v17, 0xfffffc10, v17
	v_lshl_or_b32 v21, v15, 12, v3
	v_cndmask_b32_e64 v3, 0, 1, vcc
	v_cmp_ne_u32_e32 vcc, 0, v7
	v_or_b32_e32 v25, 0x1000, v9
	v_lshrrev_b32_e32 v28, v16, v22
	v_lshlrev_b32_e32 v5, v5, v27
	v_lshl_or_b32 v24, v17, 12, v7
	v_cndmask_b32_e64 v7, 0, 1, vcc
	v_lshrrev_b32_e32 v29, v18, v25
	v_lshlrev_b32_e32 v16, v16, v28
	v_cmp_ne_u32_e32 vcc, v5, v20
	v_lshlrev_b32_e32 v18, v18, v29
	v_cndmask_b32_e64 v5, 0, 1, vcc
	v_cmp_ne_u32_e32 vcc, v16, v22
	v_cndmask_b32_e64 v16, 0, 1, vcc
	v_cmp_ne_u32_e32 vcc, v18, v25
	v_cndmask_b32_e64 v18, 0, 1, vcc
	v_or_b32_e32 v5, v27, v5
	v_cmp_gt_i32_e32 vcc, 1, v15
	v_cndmask_b32_e32 v5, v21, v5, vcc
	v_or_b32_e32 v16, v28, v16
	v_cmp_gt_i32_e32 vcc, 1, v17
	v_and_b32_e32 v20, 7, v5
	v_cndmask_b32_e32 v16, v24, v16, vcc
	v_cmp_lt_i32_e32 vcc, 5, v20
	v_cmp_eq_u32_e64 s[0:1], 3, v20
	v_lshrrev_b32_e32 v5, 2, v5
	v_and_b32_e32 v21, 7, v16
	s_or_b64 vcc, s[0:1], vcc
	v_cmp_lt_i32_e64 s[2:3], 5, v21
	v_cmp_eq_u32_e64 s[4:5], 3, v21
	v_addc_co_u32_e32 v5, vcc, 0, v5, vcc
	v_lshrrev_b32_e32 v16, 2, v16
	s_or_b64 vcc, s[4:5], s[2:3]
	v_addc_co_u32_e32 v16, vcc, 0, v16, vcc
	v_cmp_gt_i32_e32 vcc, 31, v15
	v_cndmask_b32_e32 v5, v2, v5, vcc
	v_cmp_gt_i32_e32 vcc, 31, v17
	v_lshl_or_b32 v3, v3, 9, v2
	v_cndmask_b32_e32 v16, v2, v16, vcc
	v_cmp_eq_u32_e32 vcc, s14, v15
	v_lshrrev_b32_e32 v6, 16, v6
	v_lshl_or_b32 v7, v7, 9, v2
	v_cndmask_b32_e32 v3, v5, v3, vcc
	v_cmp_eq_u32_e32 vcc, s14, v17
	v_lshrrev_b32_e32 v8, 16, v8
	v_cndmask_b32_e32 v5, v16, v7, vcc
	v_and_or_b32 v3, v6, s15, v3
	v_add_u32_e32 v19, 0xfffffc10, v19
	v_and_or_b32 v5, v8, s15, v5
	v_and_b32_e32 v3, 0xffff, v3
	v_lshl_or_b32 v26, v19, 12, v9
	v_or_b32_e32 v18, v29, v18
	v_lshl_or_b32 v3, v5, 16, v3
	v_cmp_gt_i32_e32 vcc, 1, v19
	global_store_dword v[0:1], v3, off
	v_cndmask_b32_e32 v3, v26, v18, vcc
	v_and_b32_e32 v5, 7, v3
	v_cmp_lt_i32_e32 vcc, 5, v5
	v_cmp_eq_u32_e64 s[0:1], 3, v5
	v_lshrrev_b32_e32 v5, 2, v3
	v_cvt_f64_f32_e32 v[3:4], v4
	s_or_b64 vcc, s[0:1], vcc
	v_addc_co_u32_e32 v5, vcc, 0, v5, vcc
	v_mul_f64 v[3:4], v[3:4], s[12:13]
	v_cmp_gt_i32_e32 vcc, 31, v19
	v_cndmask_b32_e32 v5, v2, v5, vcc
	v_cmp_ne_u32_e32 vcc, 0, v9
	v_cndmask_b32_e64 v6, 0, 1, vcc
	v_lshl_or_b32 v6, v6, 9, v2
	v_cmp_eq_u32_e32 vcc, s14, v19
	v_cndmask_b32_e32 v5, v5, v6, vcc
	v_and_or_b32 v3, v4, s10, v3
	v_lshrrev_b32_e32 v6, 16, v10
	v_cmp_ne_u32_e32 vcc, 0, v3
	v_and_or_b32 v9, v6, s15, v5
	v_cndmask_b32_e64 v3, 0, 1, vcc
	v_lshrrev_b32_e32 v5, 8, v4
	v_bfe_u32 v6, v4, 20, 11
	v_and_or_b32 v3, v5, s11, v3
	v_sub_u32_e32 v7, 0x3f1, v6
	v_or_b32_e32 v5, 0x1000, v3
	v_med3_i32 v7, v7, 0, 13
	v_lshrrev_b32_e32 v8, v7, v5
	v_lshlrev_b32_e32 v7, v7, v8
	v_cmp_ne_u32_e32 vcc, v7, v5
	v_cndmask_b32_e64 v5, 0, 1, vcc
	v_add_u32_e32 v7, 0xfffffc10, v6
	v_or_b32_e32 v5, v8, v5
	v_lshl_or_b32 v6, v7, 12, v3
	v_cmp_gt_i32_e32 vcc, 1, v7
	v_cndmask_b32_e32 v5, v6, v5, vcc
	v_and_b32_e32 v6, 7, v5
	v_cmp_lt_i32_e32 vcc, 5, v6
	v_cmp_eq_u32_e64 s[0:1], 3, v6
	v_lshrrev_b32_e32 v5, 2, v5
	s_or_b64 vcc, s[0:1], vcc
	v_addc_co_u32_e32 v8, vcc, 0, v5, vcc
	ds_read2_b32 v[5:6], v23 offset0:126 offset1:175
	v_cmp_gt_i32_e32 vcc, 31, v7
	v_cndmask_b32_e32 v8, v2, v8, vcc
	v_cmp_ne_u32_e32 vcc, 0, v3
	v_cndmask_b32_e64 v3, 0, 1, vcc
	s_waitcnt lgkmcnt(0)
	v_lshrrev_b32_e32 v10, 16, v5
	s_waitcnt vmcnt(2)
	v_mul_f16_sdwa v11, v10, v12 dst_sel:DWORD dst_unused:UNUSED_PAD src0_sel:DWORD src1_sel:WORD_1
	v_fma_f16 v11, v5, v12, v11
	v_cvt_f32_f16_e32 v11, v11
	v_lshl_or_b32 v3, v3, 9, v2
	v_cmp_eq_u32_e32 vcc, s14, v7
	v_cndmask_b32_e32 v3, v8, v3, vcc
	v_cvt_f64_f32_e32 v[7:8], v11
	v_lshrrev_b32_e32 v4, 16, v4
	v_and_or_b32 v11, v4, s15, v3
	v_and_b32_e32 v9, 0xffff, v9
	v_mul_f64 v[3:4], v[7:8], s[12:13]
	v_lshl_or_b32 v7, v11, 16, v9
	v_mov_b32_e32 v9, s7
	v_add_co_u32_e32 v0, vcc, s6, v0
	v_addc_co_u32_e32 v1, vcc, v1, v9, vcc
	global_store_dword v[0:1], v7, off
	v_and_or_b32 v3, v4, s10, v3
	v_cmp_ne_u32_e32 vcc, 0, v3
	v_cndmask_b32_e64 v3, 0, 1, vcc
	v_lshrrev_b32_e32 v7, 8, v4
	v_bfe_u32 v8, v4, 20, 11
	v_and_or_b32 v3, v7, s11, v3
	v_sub_u32_e32 v11, 0x3f1, v8
	v_or_b32_e32 v7, 0x1000, v3
	v_med3_i32 v11, v11, 0, 13
	v_lshrrev_b32_e32 v14, v11, v7
	v_lshlrev_b32_e32 v11, v11, v14
	v_mul_f16_sdwa v5, v5, v12 dst_sel:DWORD dst_unused:UNUSED_PAD src0_sel:DWORD src1_sel:WORD_1
	v_cmp_ne_u32_e32 vcc, v11, v7
	v_fma_f16 v5, v12, v10, -v5
	v_cndmask_b32_e64 v7, 0, 1, vcc
	v_add_u32_e32 v11, 0xfffffc10, v8
	v_cvt_f32_f16_e32 v5, v5
	v_or_b32_e32 v7, v14, v7
	v_lshl_or_b32 v8, v11, 12, v3
	v_cmp_gt_i32_e32 vcc, 1, v11
	v_cndmask_b32_e32 v7, v8, v7, vcc
	v_and_b32_e32 v8, 7, v7
	v_cmp_lt_i32_e32 vcc, 5, v8
	v_cmp_eq_u32_e64 s[0:1], 3, v8
	v_lshrrev_b32_e32 v10, 2, v7
	v_cvt_f64_f32_e32 v[7:8], v5
	s_or_b64 vcc, s[0:1], vcc
	v_addc_co_u32_e32 v5, vcc, 0, v10, vcc
	v_mul_f64 v[7:8], v[7:8], s[12:13]
	v_cmp_gt_i32_e32 vcc, 31, v11
	v_cndmask_b32_e32 v5, v2, v5, vcc
	v_cmp_ne_u32_e32 vcc, 0, v3
	v_cndmask_b32_e64 v3, 0, 1, vcc
	v_lshl_or_b32 v3, v3, 9, v2
	v_cmp_eq_u32_e32 vcc, s14, v11
	v_cndmask_b32_e32 v3, v5, v3, vcc
	v_lshrrev_b32_e32 v4, 16, v4
	v_and_or_b32 v5, v4, s15, v3
	v_and_or_b32 v3, v8, s10, v7
	v_cmp_ne_u32_e32 vcc, 0, v3
	v_cndmask_b32_e64 v3, 0, 1, vcc
	v_lshrrev_b32_e32 v4, 8, v8
	v_bfe_u32 v7, v8, 20, 11
	v_and_or_b32 v3, v4, s11, v3
	v_sub_u32_e32 v10, 0x3f1, v7
	v_or_b32_e32 v4, 0x1000, v3
	v_med3_i32 v10, v10, 0, 13
	v_lshrrev_b32_e32 v11, v10, v4
	v_lshlrev_b32_e32 v10, v10, v11
	v_cmp_ne_u32_e32 vcc, v10, v4
	v_cndmask_b32_e64 v4, 0, 1, vcc
	v_add_u32_e32 v7, 0xfffffc10, v7
	v_or_b32_e32 v4, v11, v4
	v_lshl_or_b32 v10, v7, 12, v3
	v_cmp_gt_i32_e32 vcc, 1, v7
	v_cndmask_b32_e32 v4, v10, v4, vcc
	v_and_b32_e32 v10, 7, v4
	v_cmp_lt_i32_e32 vcc, 5, v10
	v_cmp_eq_u32_e64 s[0:1], 3, v10
	v_lshrrev_b32_e32 v4, 2, v4
	s_or_b64 vcc, s[0:1], vcc
	v_addc_co_u32_e32 v4, vcc, 0, v4, vcc
	v_cmp_gt_i32_e32 vcc, 31, v7
	v_lshrrev_b32_e32 v11, 16, v6
	v_cndmask_b32_e32 v10, v2, v4, vcc
	s_waitcnt vmcnt(2)
	v_mul_f16_sdwa v4, v11, v13 dst_sel:DWORD dst_unused:UNUSED_PAD src0_sel:DWORD src1_sel:WORD_1
	v_fma_f16 v4, v6, v13, v4
	v_cvt_f32_f16_e32 v4, v4
	v_cmp_ne_u32_e32 vcc, 0, v3
	v_cndmask_b32_e64 v3, 0, 1, vcc
	v_lshl_or_b32 v12, v3, 9, v2
	v_cvt_f64_f32_e32 v[3:4], v4
	v_cmp_eq_u32_e32 vcc, s14, v7
	v_cndmask_b32_e32 v7, v10, v12, vcc
	v_lshrrev_b32_e32 v8, 16, v8
	v_mul_f64 v[3:4], v[3:4], s[12:13]
	v_add_co_u32_e32 v0, vcc, s6, v0
	v_and_or_b32 v7, v8, s15, v7
	v_and_b32_e32 v5, 0xffff, v5
	v_addc_co_u32_e32 v1, vcc, v1, v9, vcc
	v_lshl_or_b32 v5, v7, 16, v5
	v_and_or_b32 v3, v4, s10, v3
	v_cmp_ne_u32_e32 vcc, 0, v3
	global_store_dword v[0:1], v5, off
	v_cndmask_b32_e64 v3, 0, 1, vcc
	v_lshrrev_b32_e32 v5, 8, v4
	v_bfe_u32 v7, v4, 20, 11
	v_and_or_b32 v3, v5, s11, v3
	v_sub_u32_e32 v8, 0x3f1, v7
	v_or_b32_e32 v5, 0x1000, v3
	v_med3_i32 v8, v8, 0, 13
	v_lshrrev_b32_e32 v10, v8, v5
	v_lshlrev_b32_e32 v8, v8, v10
	v_mul_f16_sdwa v6, v6, v13 dst_sel:DWORD dst_unused:UNUSED_PAD src0_sel:DWORD src1_sel:WORD_1
	v_cmp_ne_u32_e32 vcc, v8, v5
	v_fma_f16 v6, v13, v11, -v6
	v_cndmask_b32_e64 v5, 0, 1, vcc
	v_add_u32_e32 v7, 0xfffffc10, v7
	v_cvt_f32_f16_e32 v6, v6
	v_or_b32_e32 v5, v10, v5
	v_lshl_or_b32 v8, v7, 12, v3
	v_cmp_gt_i32_e32 vcc, 1, v7
	v_cndmask_b32_e32 v5, v8, v5, vcc
	v_and_b32_e32 v8, 7, v5
	v_cmp_lt_i32_e32 vcc, 5, v8
	v_cmp_eq_u32_e64 s[0:1], 3, v8
	v_lshrrev_b32_e32 v8, 2, v5
	v_cvt_f64_f32_e32 v[5:6], v6
	s_or_b64 vcc, s[0:1], vcc
	v_addc_co_u32_e32 v8, vcc, 0, v8, vcc
	v_mul_f64 v[5:6], v[5:6], s[12:13]
	v_cmp_gt_i32_e32 vcc, 31, v7
	v_cndmask_b32_e32 v8, v2, v8, vcc
	v_cmp_ne_u32_e32 vcc, 0, v3
	v_cndmask_b32_e64 v3, 0, 1, vcc
	v_lshl_or_b32 v3, v3, 9, v2
	v_cmp_eq_u32_e32 vcc, s14, v7
	v_cndmask_b32_e32 v3, v8, v3, vcc
	v_lshrrev_b32_e32 v4, 16, v4
	v_and_or_b32 v3, v4, s15, v3
	v_and_or_b32 v4, v6, s10, v5
	v_cmp_ne_u32_e32 vcc, 0, v4
	v_cndmask_b32_e64 v4, 0, 1, vcc
	v_lshrrev_b32_e32 v5, 8, v6
	v_bfe_u32 v7, v6, 20, 11
	v_and_or_b32 v4, v5, s11, v4
	v_sub_u32_e32 v8, 0x3f1, v7
	v_or_b32_e32 v5, 0x1000, v4
	v_med3_i32 v8, v8, 0, 13
	v_lshrrev_b32_e32 v10, v8, v5
	v_lshlrev_b32_e32 v8, v8, v10
	v_cmp_ne_u32_e32 vcc, v8, v5
	v_cndmask_b32_e64 v5, 0, 1, vcc
	v_add_u32_e32 v7, 0xfffffc10, v7
	v_or_b32_e32 v5, v10, v5
	v_lshl_or_b32 v8, v7, 12, v4
	v_cmp_gt_i32_e32 vcc, 1, v7
	v_cndmask_b32_e32 v5, v8, v5, vcc
	v_and_b32_e32 v8, 7, v5
	v_cmp_lt_i32_e32 vcc, 5, v8
	v_cmp_eq_u32_e64 s[0:1], 3, v8
	v_lshrrev_b32_e32 v5, 2, v5
	s_or_b64 vcc, s[0:1], vcc
	v_addc_co_u32_e32 v5, vcc, 0, v5, vcc
	v_cmp_gt_i32_e32 vcc, 31, v7
	v_cndmask_b32_e32 v5, v2, v5, vcc
	v_cmp_ne_u32_e32 vcc, 0, v4
	v_cndmask_b32_e64 v4, 0, 1, vcc
	v_lshl_or_b32 v2, v4, 9, v2
	v_cmp_eq_u32_e32 vcc, s14, v7
	v_cndmask_b32_e32 v2, v5, v2, vcc
	v_lshrrev_b32_e32 v4, 16, v6
	v_and_or_b32 v2, v4, s15, v2
	v_and_b32_e32 v3, 0xffff, v3
	v_add_co_u32_e32 v0, vcc, s6, v0
	v_lshl_or_b32 v2, v2, 16, v3
	v_addc_co_u32_e32 v1, vcc, v1, v9, vcc
	global_store_dword v[0:1], v2, off
.LBB0_15:
	s_endpgm
	.section	.rodata,"a",@progbits
	.p2align	6, 0x0
	.amdhsa_kernel bluestein_single_fwd_len196_dim1_half_op_CI_CI
		.amdhsa_group_segment_fixed_size 1568
		.amdhsa_private_segment_fixed_size 0
		.amdhsa_kernarg_size 104
		.amdhsa_user_sgpr_count 6
		.amdhsa_user_sgpr_private_segment_buffer 1
		.amdhsa_user_sgpr_dispatch_ptr 0
		.amdhsa_user_sgpr_queue_ptr 0
		.amdhsa_user_sgpr_kernarg_segment_ptr 1
		.amdhsa_user_sgpr_dispatch_id 0
		.amdhsa_user_sgpr_flat_scratch_init 0
		.amdhsa_user_sgpr_private_segment_size 0
		.amdhsa_uses_dynamic_stack 0
		.amdhsa_system_sgpr_private_segment_wavefront_offset 0
		.amdhsa_system_sgpr_workgroup_id_x 1
		.amdhsa_system_sgpr_workgroup_id_y 0
		.amdhsa_system_sgpr_workgroup_id_z 0
		.amdhsa_system_sgpr_workgroup_info 0
		.amdhsa_system_vgpr_workitem_id 0
		.amdhsa_next_free_vgpr 53
		.amdhsa_next_free_sgpr 18
		.amdhsa_reserve_vcc 1
		.amdhsa_reserve_flat_scratch 0
		.amdhsa_float_round_mode_32 0
		.amdhsa_float_round_mode_16_64 0
		.amdhsa_float_denorm_mode_32 3
		.amdhsa_float_denorm_mode_16_64 3
		.amdhsa_dx10_clamp 1
		.amdhsa_ieee_mode 1
		.amdhsa_fp16_overflow 0
		.amdhsa_exception_fp_ieee_invalid_op 0
		.amdhsa_exception_fp_denorm_src 0
		.amdhsa_exception_fp_ieee_div_zero 0
		.amdhsa_exception_fp_ieee_overflow 0
		.amdhsa_exception_fp_ieee_underflow 0
		.amdhsa_exception_fp_ieee_inexact 0
		.amdhsa_exception_int_div_zero 0
	.end_amdhsa_kernel
	.text
.Lfunc_end0:
	.size	bluestein_single_fwd_len196_dim1_half_op_CI_CI, .Lfunc_end0-bluestein_single_fwd_len196_dim1_half_op_CI_CI
                                        ; -- End function
	.section	.AMDGPU.csdata,"",@progbits
; Kernel info:
; codeLenInByte = 10028
; NumSgprs: 22
; NumVgprs: 53
; ScratchSize: 0
; MemoryBound: 0
; FloatMode: 240
; IeeeMode: 1
; LDSByteSize: 1568 bytes/workgroup (compile time only)
; SGPRBlocks: 2
; VGPRBlocks: 13
; NumSGPRsForWavesPerEU: 22
; NumVGPRsForWavesPerEU: 53
; Occupancy: 4
; WaveLimiterHint : 1
; COMPUTE_PGM_RSRC2:SCRATCH_EN: 0
; COMPUTE_PGM_RSRC2:USER_SGPR: 6
; COMPUTE_PGM_RSRC2:TRAP_HANDLER: 0
; COMPUTE_PGM_RSRC2:TGID_X_EN: 1
; COMPUTE_PGM_RSRC2:TGID_Y_EN: 0
; COMPUTE_PGM_RSRC2:TGID_Z_EN: 0
; COMPUTE_PGM_RSRC2:TIDIG_COMP_CNT: 0
	.type	__hip_cuid_602291c5a6e197e0,@object ; @__hip_cuid_602291c5a6e197e0
	.section	.bss,"aw",@nobits
	.globl	__hip_cuid_602291c5a6e197e0
__hip_cuid_602291c5a6e197e0:
	.byte	0                               ; 0x0
	.size	__hip_cuid_602291c5a6e197e0, 1

	.ident	"AMD clang version 19.0.0git (https://github.com/RadeonOpenCompute/llvm-project roc-6.4.0 25133 c7fe45cf4b819c5991fe208aaa96edf142730f1d)"
	.section	".note.GNU-stack","",@progbits
	.addrsig
	.addrsig_sym __hip_cuid_602291c5a6e197e0
	.amdgpu_metadata
---
amdhsa.kernels:
  - .args:
      - .actual_access:  read_only
        .address_space:  global
        .offset:         0
        .size:           8
        .value_kind:     global_buffer
      - .actual_access:  read_only
        .address_space:  global
        .offset:         8
        .size:           8
        .value_kind:     global_buffer
      - .actual_access:  read_only
        .address_space:  global
        .offset:         16
        .size:           8
        .value_kind:     global_buffer
      - .actual_access:  read_only
        .address_space:  global
        .offset:         24
        .size:           8
        .value_kind:     global_buffer
      - .actual_access:  read_only
        .address_space:  global
        .offset:         32
        .size:           8
        .value_kind:     global_buffer
      - .offset:         40
        .size:           8
        .value_kind:     by_value
      - .address_space:  global
        .offset:         48
        .size:           8
        .value_kind:     global_buffer
      - .address_space:  global
        .offset:         56
        .size:           8
        .value_kind:     global_buffer
      - .address_space:  global
        .offset:         64
        .size:           8
        .value_kind:     global_buffer
      - .address_space:  global
        .offset:         72
        .size:           8
        .value_kind:     global_buffer
      - .offset:         80
        .size:           4
        .value_kind:     by_value
      - .address_space:  global
        .offset:         88
        .size:           8
        .value_kind:     global_buffer
      - .address_space:  global
        .offset:         96
        .size:           8
        .value_kind:     global_buffer
    .group_segment_fixed_size: 1568
    .kernarg_segment_align: 8
    .kernarg_segment_size: 104
    .language:       OpenCL C
    .language_version:
      - 2
      - 0
    .max_flat_workgroup_size: 56
    .name:           bluestein_single_fwd_len196_dim1_half_op_CI_CI
    .private_segment_fixed_size: 0
    .sgpr_count:     22
    .sgpr_spill_count: 0
    .symbol:         bluestein_single_fwd_len196_dim1_half_op_CI_CI.kd
    .uniform_work_group_size: 1
    .uses_dynamic_stack: false
    .vgpr_count:     53
    .vgpr_spill_count: 0
    .wavefront_size: 64
amdhsa.target:   amdgcn-amd-amdhsa--gfx906
amdhsa.version:
  - 1
  - 2
...

	.end_amdgpu_metadata
